;; amdgpu-corpus repo=ROCm/rocBLAS kind=compiled arch=gfx906 opt=O3
	.amdgcn_target "amdgcn-amd-amdhsa--gfx906"
	.amdhsa_code_object_version 6
	.section	.text._ZL18rocblas_her_kernelILi1024EPKfPK19rocblas_complex_numIfEPS3_EvbiT0_T1_lllT2_llli,"axG",@progbits,_ZL18rocblas_her_kernelILi1024EPKfPK19rocblas_complex_numIfEPS3_EvbiT0_T1_lllT2_llli,comdat
	.globl	_ZL18rocblas_her_kernelILi1024EPKfPK19rocblas_complex_numIfEPS3_EvbiT0_T1_lllT2_llli ; -- Begin function _ZL18rocblas_her_kernelILi1024EPKfPK19rocblas_complex_numIfEPS3_EvbiT0_T1_lllT2_llli
	.p2align	8
	.type	_ZL18rocblas_her_kernelILi1024EPKfPK19rocblas_complex_numIfEPS3_EvbiT0_T1_lllT2_llli,@function
_ZL18rocblas_her_kernelILi1024EPKfPK19rocblas_complex_numIfEPS3_EvbiT0_T1_lllT2_llli: ; @_ZL18rocblas_her_kernelILi1024EPKfPK19rocblas_complex_numIfEPS3_EvbiT0_T1_lllT2_llli
; %bb.0:
	s_load_dwordx16 s[8:23], s[4:5], 0x8
	s_waitcnt lgkmcnt(0)
	s_load_dword s27, s[8:9], 0x0
	s_waitcnt lgkmcnt(0)
	v_cmp_eq_f32_e64 s[0:1], s27, 0
	s_and_b64 vcc, exec, s[0:1]
	s_cbranch_vccnz .LBB0_15
; %bb.1:
	s_load_dwordx2 s[24:25], s[4:5], 0x0
	s_load_dwordx2 s[0:1], s[4:5], 0x48
	s_waitcnt lgkmcnt(0)
	s_and_b32 s28, s24, 1
	s_mul_i32 s1, s1, s7
	s_mul_hi_u32 s2, s0, s7
	s_mul_i32 s0, s0, s7
	s_add_i32 s1, s2, s1
	s_lshl_b64 s[2:3], s[0:1], 3
	s_add_u32 s0, s18, s2
	s_addc_u32 s1, s19, s3
	s_lshl_b64 s[4:5], s[22:23], 3
	s_add_u32 s22, s0, s4
	s_addc_u32 s23, s1, s5
	s_mul_i32 s0, s17, s7
	s_mul_hi_u32 s1, s16, s7
	s_add_i32 s1, s1, s0
	s_mul_i32 s0, s16, s7
	s_lshl_b64 s[8:9], s[0:1], 3
	s_add_u32 s0, s10, s8
	s_addc_u32 s1, s11, s9
	s_lshl_b64 s[16:17], s[12:13], 3
	s_add_u32 s24, s0, s16
	s_addc_u32 s26, s1, s17
	s_ashr_i32 s7, s6, 31
	s_mul_hi_u32 s0, s20, s6
	s_mul_i32 s1, s20, s7
	s_add_i32 s0, s0, s1
	s_mul_i32 s1, s21, s6
	s_add_i32 s1, s0, s1
	s_mul_i32 s0, s20, s6
	s_lshl_b64 s[12:13], s[0:1], 3
	s_mul_hi_u32 s0, s14, s6
	s_mul_i32 s1, s14, s7
	s_add_i32 s0, s0, s1
	s_mul_i32 s1, s15, s6
	s_add_i32 s1, s0, s1
	s_mul_i32 s0, s14, s6
	s_lshl_b64 s[0:1], s[0:1], 3
	s_add_u32 s0, s24, s0
	s_addc_u32 s1, s26, s1
	v_cmp_gt_i32_e32 vcc, s25, v0
	v_cndmask_b32_e32 v1, 0, v0, vcc
	s_load_dwordx2 s[20:21], s[0:1], 0x0
	v_lshlrev_b32_e32 v3, 3, v1
	v_mov_b32_e32 v1, s23
	v_add_co_u32_e32 v2, vcc, s22, v3
	v_addc_co_u32_e32 v1, vcc, 0, v1, vcc
	v_mov_b32_e32 v4, s13
	v_add_co_u32_e32 v8, vcc, s12, v2
	v_addc_co_u32_e32 v9, vcc, v1, v4, vcc
	s_waitcnt lgkmcnt(0)
	v_mul_f32_e64 v7, s21, 0
	v_mov_b32_e32 v1, s20
	v_fmac_f32_e32 v7, s27, v1
	v_mov_b32_e32 v1, s21
	v_mul_f32_e32 v1, s27, v1
	s_cmp_eq_u32 s28, 0
	v_fma_f32 v10, s20, 0, -v1
	s_mov_b64 s[20:21], -1
	s_cbranch_scc0 .LBB0_8
; %bb.2:
	v_cmp_eq_u32_e32 vcc, 0, v0
	s_and_saveexec_b64 s[20:21], vcc
	s_cbranch_execz .LBB0_4
; %bb.3:
	s_lshl_b64 s[22:23], s[6:7], 3
	v_mov_b32_e32 v2, s23
	v_add_co_u32_e32 v1, vcc, s22, v8
	v_addc_co_u32_e32 v2, vcc, v9, v2, vcc
	global_load_dword v4, v[1:2], off
	s_load_dwordx2 s[22:23], s[0:1], 0x0
	s_waitcnt lgkmcnt(0)
	v_mul_f32_e32 v5, s23, v10
	v_fma_f32 v5, v7, s22, -v5
	s_waitcnt vmcnt(0)
	v_add_f32_e32 v4, v4, v5
	v_mov_b32_e32 v5, 0
	global_store_dwordx2 v[1:2], v[4:5], off
.LBB0_4:
	s_or_b64 exec, exec, s[20:21]
	s_add_i32 s22, s6, 1
	v_add_u32_e32 v4, s22, v0
	v_cmp_gt_i32_e32 vcc, s25, v4
	s_and_saveexec_b64 s[20:21], vcc
	s_cbranch_execz .LBB0_7
; %bb.5:
	s_add_u32 s7, s12, s2
	s_addc_u32 s23, s13, s3
	s_add_u32 s7, s7, s4
	s_addc_u32 s27, s23, s5
	s_ashr_i32 s23, s22, 31
	s_lshl_b64 s[22:23], s[22:23], 3
	s_add_u32 s7, s7, s22
	s_addc_u32 s22, s27, s23
	s_add_u32 s7, s18, s7
	s_addc_u32 s22, s19, s22
	v_mov_b32_e32 v1, s22
	v_add_co_u32_e32 v2, vcc, s7, v3
	v_addc_co_u32_e32 v5, vcc, 0, v1, vcc
	v_add_co_u32_e32 v1, vcc, 4, v2
	v_addc_co_u32_e32 v2, vcc, 0, v5, vcc
	s_mov_b64 s[22:23], 0
	v_mov_b32_e32 v5, s26
.LBB0_6:                                ; =>This Inner Loop Header: Depth=1
	v_ashrrev_i32_e32 v6, 31, v4
	v_mul_lo_u32 v13, s15, v4
	v_mad_u64_u32 v[11:12], s[26:27], s14, v4, 0
	v_mul_lo_u32 v6, s14, v6
	v_add_u32_e32 v4, 0x400, v4
	v_add3_u32 v12, v12, v6, v13
	v_lshlrev_b64 v[11:12], 3, v[11:12]
	v_add_co_u32_e32 v11, vcc, s24, v11
	v_addc_co_u32_e32 v12, vcc, v5, v12, vcc
	global_load_dwordx2 v[13:14], v[11:12], off
	global_load_dwordx2 v[15:16], v[1:2], off offset:-4
	v_cmp_le_i32_e32 vcc, s25, v4
	s_or_b64 s[22:23], vcc, s[22:23]
	s_waitcnt vmcnt(1)
	v_mul_f32_e32 v6, v10, v14
	v_mul_f32_e32 v12, v7, v14
	v_fma_f32 v6, v7, v13, -v6
	v_fmac_f32_e32 v12, v10, v13
	s_waitcnt vmcnt(0)
	v_add_f32_e32 v11, v15, v6
	v_add_f32_e32 v12, v12, v16
	global_store_dwordx2 v[1:2], v[11:12], off offset:-4
	v_add_co_u32_e32 v1, vcc, 0x2000, v1
	v_addc_co_u32_e32 v2, vcc, 0, v2, vcc
	s_andn2_b64 exec, exec, s[22:23]
	s_cbranch_execnz .LBB0_6
.LBB0_7:
	s_or_b64 exec, exec, s[20:21]
	s_mov_b64 s[20:21], 0
.LBB0_8:
	s_and_b64 vcc, exec, s[20:21]
	s_cbranch_vccz .LBB0_15
; %bb.9:
	v_mov_b32_e32 v5, 0
	v_cmp_gt_i32_e32 vcc, s6, v0
	v_mov_b32_e32 v6, 0
	v_mov_b32_e32 v11, v0
	s_and_saveexec_b64 s[20:21], vcc
	s_cbranch_execz .LBB0_13
; %bb.10:
	v_mad_u64_u32 v[1:2], s[22:23], s14, v0, 0
	s_add_u32 s7, s10, s16
	s_addc_u32 s10, s11, s17
	v_mad_u64_u32 v[4:5], s[22:23], s15, v0, v[2:3]
	s_add_u32 s7, s7, s8
	s_addc_u32 s8, s10, s9
	v_mov_b32_e32 v2, v4
	v_mov_b32_e32 v4, s8
	s_lshl_b64 s[8:9], s[14:15], 13
	v_lshlrev_b64 v[1:2], 3, v[1:2]
	s_add_u32 s2, s12, s2
	s_addc_u32 s3, s13, s3
	v_add_co_u32_e32 v1, vcc, s7, v1
	s_add_u32 s2, s2, s4
	v_addc_co_u32_e32 v2, vcc, v4, v2, vcc
	s_addc_u32 s3, s3, s5
	v_add_co_u32_e32 v1, vcc, 4, v1
	s_add_u32 s2, s18, s2
	v_addc_co_u32_e32 v2, vcc, 0, v2, vcc
	s_addc_u32 s3, s19, s3
	v_mov_b32_e32 v4, s3
	v_add_co_u32_e32 v3, vcc, s2, v3
	v_addc_co_u32_e32 v4, vcc, 0, v4, vcc
	v_add_co_u32_e32 v3, vcc, 4, v3
	v_addc_co_u32_e32 v4, vcc, 0, v4, vcc
	s_mov_b32 s4, 0
	s_mov_b64 s[2:3], 0
	v_mov_b32_e32 v6, s9
.LBB0_11:                               ; =>This Inner Loop Header: Depth=1
	global_load_dwordx2 v[12:13], v[1:2], off offset:-4
	global_load_dwordx2 v[14:15], v[3:4], off offset:-4
	s_addk_i32 s4, 0x400
	v_add_co_u32_e32 v1, vcc, s8, v1
	v_addc_co_u32_e32 v2, vcc, v2, v6, vcc
	v_add_u32_e32 v11, s4, v0
	v_cmp_le_i32_e32 vcc, s6, v11
	s_or_b64 s[2:3], vcc, s[2:3]
	v_mov_b32_e32 v5, s4
	s_waitcnt vmcnt(1)
	v_mul_f32_e32 v16, v10, v13
	v_mul_f32_e32 v13, v7, v13
	v_fma_f32 v16, v7, v12, -v16
	v_fmac_f32_e32 v13, v10, v12
	s_waitcnt vmcnt(0)
	v_add_f32_e32 v12, v14, v16
	v_add_f32_e32 v13, v13, v15
	global_store_dwordx2 v[3:4], v[12:13], off offset:-4
	v_add_co_u32_e32 v3, vcc, 0x2000, v3
	v_addc_co_u32_e32 v4, vcc, 0, v4, vcc
	s_andn2_b64 exec, exec, s[2:3]
	s_cbranch_execnz .LBB0_11
; %bb.12:
	s_or_b64 exec, exec, s[2:3]
	v_mov_b32_e32 v6, 0
.LBB0_13:
	s_or_b64 exec, exec, s[20:21]
	v_cmp_eq_u32_e32 vcc, s6, v11
	s_and_saveexec_b64 s[2:3], vcc
	s_cbranch_execz .LBB0_15
; %bb.14:
	v_lshlrev_b64 v[0:1], 3, v[5:6]
	s_load_dwordx2 s[2:3], s[0:1], 0x0
	v_add_co_u32_e32 v0, vcc, v8, v0
	v_addc_co_u32_e32 v1, vcc, v9, v1, vcc
	global_load_dword v2, v[0:1], off
	s_waitcnt lgkmcnt(0)
	v_mul_f32_e32 v3, s3, v10
	v_fma_f32 v3, v7, s2, -v3
	s_waitcnt vmcnt(0)
	v_add_f32_e32 v2, v2, v3
	v_mov_b32_e32 v3, 0
	global_store_dwordx2 v[0:1], v[2:3], off
.LBB0_15:
	s_endpgm
	.section	.rodata,"a",@progbits
	.p2align	6, 0x0
	.amdhsa_kernel _ZL18rocblas_her_kernelILi1024EPKfPK19rocblas_complex_numIfEPS3_EvbiT0_T1_lllT2_llli
		.amdhsa_group_segment_fixed_size 0
		.amdhsa_private_segment_fixed_size 0
		.amdhsa_kernarg_size 84
		.amdhsa_user_sgpr_count 6
		.amdhsa_user_sgpr_private_segment_buffer 1
		.amdhsa_user_sgpr_dispatch_ptr 0
		.amdhsa_user_sgpr_queue_ptr 0
		.amdhsa_user_sgpr_kernarg_segment_ptr 1
		.amdhsa_user_sgpr_dispatch_id 0
		.amdhsa_user_sgpr_flat_scratch_init 0
		.amdhsa_user_sgpr_private_segment_size 0
		.amdhsa_uses_dynamic_stack 0
		.amdhsa_system_sgpr_private_segment_wavefront_offset 0
		.amdhsa_system_sgpr_workgroup_id_x 1
		.amdhsa_system_sgpr_workgroup_id_y 0
		.amdhsa_system_sgpr_workgroup_id_z 1
		.amdhsa_system_sgpr_workgroup_info 0
		.amdhsa_system_vgpr_workitem_id 0
		.amdhsa_next_free_vgpr 17
		.amdhsa_next_free_sgpr 29
		.amdhsa_reserve_vcc 1
		.amdhsa_reserve_flat_scratch 0
		.amdhsa_float_round_mode_32 0
		.amdhsa_float_round_mode_16_64 0
		.amdhsa_float_denorm_mode_32 3
		.amdhsa_float_denorm_mode_16_64 3
		.amdhsa_dx10_clamp 1
		.amdhsa_ieee_mode 1
		.amdhsa_fp16_overflow 0
		.amdhsa_exception_fp_ieee_invalid_op 0
		.amdhsa_exception_fp_denorm_src 0
		.amdhsa_exception_fp_ieee_div_zero 0
		.amdhsa_exception_fp_ieee_overflow 0
		.amdhsa_exception_fp_ieee_underflow 0
		.amdhsa_exception_fp_ieee_inexact 0
		.amdhsa_exception_int_div_zero 0
	.end_amdhsa_kernel
	.section	.text._ZL18rocblas_her_kernelILi1024EPKfPK19rocblas_complex_numIfEPS3_EvbiT0_T1_lllT2_llli,"axG",@progbits,_ZL18rocblas_her_kernelILi1024EPKfPK19rocblas_complex_numIfEPS3_EvbiT0_T1_lllT2_llli,comdat
.Lfunc_end0:
	.size	_ZL18rocblas_her_kernelILi1024EPKfPK19rocblas_complex_numIfEPS3_EvbiT0_T1_lllT2_llli, .Lfunc_end0-_ZL18rocblas_her_kernelILi1024EPKfPK19rocblas_complex_numIfEPS3_EvbiT0_T1_lllT2_llli
                                        ; -- End function
	.set _ZL18rocblas_her_kernelILi1024EPKfPK19rocblas_complex_numIfEPS3_EvbiT0_T1_lllT2_llli.num_vgpr, 17
	.set _ZL18rocblas_her_kernelILi1024EPKfPK19rocblas_complex_numIfEPS3_EvbiT0_T1_lllT2_llli.num_agpr, 0
	.set _ZL18rocblas_her_kernelILi1024EPKfPK19rocblas_complex_numIfEPS3_EvbiT0_T1_lllT2_llli.numbered_sgpr, 29
	.set _ZL18rocblas_her_kernelILi1024EPKfPK19rocblas_complex_numIfEPS3_EvbiT0_T1_lllT2_llli.num_named_barrier, 0
	.set _ZL18rocblas_her_kernelILi1024EPKfPK19rocblas_complex_numIfEPS3_EvbiT0_T1_lllT2_llli.private_seg_size, 0
	.set _ZL18rocblas_her_kernelILi1024EPKfPK19rocblas_complex_numIfEPS3_EvbiT0_T1_lllT2_llli.uses_vcc, 1
	.set _ZL18rocblas_her_kernelILi1024EPKfPK19rocblas_complex_numIfEPS3_EvbiT0_T1_lllT2_llli.uses_flat_scratch, 0
	.set _ZL18rocblas_her_kernelILi1024EPKfPK19rocblas_complex_numIfEPS3_EvbiT0_T1_lllT2_llli.has_dyn_sized_stack, 0
	.set _ZL18rocblas_her_kernelILi1024EPKfPK19rocblas_complex_numIfEPS3_EvbiT0_T1_lllT2_llli.has_recursion, 0
	.set _ZL18rocblas_her_kernelILi1024EPKfPK19rocblas_complex_numIfEPS3_EvbiT0_T1_lllT2_llli.has_indirect_call, 0
	.section	.AMDGPU.csdata,"",@progbits
; Kernel info:
; codeLenInByte = 992
; TotalNumSgprs: 33
; NumVgprs: 17
; ScratchSize: 0
; MemoryBound: 0
; FloatMode: 240
; IeeeMode: 1
; LDSByteSize: 0 bytes/workgroup (compile time only)
; SGPRBlocks: 4
; VGPRBlocks: 4
; NumSGPRsForWavesPerEU: 33
; NumVGPRsForWavesPerEU: 17
; Occupancy: 10
; WaveLimiterHint : 1
; COMPUTE_PGM_RSRC2:SCRATCH_EN: 0
; COMPUTE_PGM_RSRC2:USER_SGPR: 6
; COMPUTE_PGM_RSRC2:TRAP_HANDLER: 0
; COMPUTE_PGM_RSRC2:TGID_X_EN: 1
; COMPUTE_PGM_RSRC2:TGID_Y_EN: 0
; COMPUTE_PGM_RSRC2:TGID_Z_EN: 1
; COMPUTE_PGM_RSRC2:TIDIG_COMP_CNT: 0
	.section	.text._ZL18rocblas_her_kernelILi1024EfPK19rocblas_complex_numIfEPS1_EvbiT0_T1_lllT2_llli,"axG",@progbits,_ZL18rocblas_her_kernelILi1024EfPK19rocblas_complex_numIfEPS1_EvbiT0_T1_lllT2_llli,comdat
	.globl	_ZL18rocblas_her_kernelILi1024EfPK19rocblas_complex_numIfEPS1_EvbiT0_T1_lllT2_llli ; -- Begin function _ZL18rocblas_her_kernelILi1024EfPK19rocblas_complex_numIfEPS1_EvbiT0_T1_lllT2_llli
	.p2align	8
	.type	_ZL18rocblas_her_kernelILi1024EfPK19rocblas_complex_numIfEPS1_EvbiT0_T1_lllT2_llli,@function
_ZL18rocblas_her_kernelILi1024EfPK19rocblas_complex_numIfEPS1_EvbiT0_T1_lllT2_llli: ; @_ZL18rocblas_her_kernelILi1024EfPK19rocblas_complex_numIfEPS1_EvbiT0_T1_lllT2_llli
; %bb.0:
	s_load_dwordx4 s[0:3], s[4:5], 0x0
	s_waitcnt lgkmcnt(0)
	v_cmp_eq_f32_e64 s[8:9], s2, 0
	s_and_b64 vcc, exec, s[8:9]
	s_cbranch_vccnz .LBB1_15
; %bb.1:
	s_load_dwordx16 s[8:23], s[4:5], 0x10
	s_and_b32 s3, s0, 1
	v_cmp_gt_i32_e32 vcc, s1, v0
	v_cndmask_b32_e32 v1, 0, v0, vcc
	v_lshlrev_b32_e32 v3, 3, v1
	s_waitcnt lgkmcnt(0)
	s_mul_i32 s0, s23, s7
	s_mul_hi_u32 s5, s22, s7
	s_mul_i32 s4, s22, s7
	s_add_i32 s5, s5, s0
	s_lshl_b64 s[22:23], s[4:5], 3
	s_add_u32 s0, s16, s22
	s_addc_u32 s4, s17, s23
	s_lshl_b64 s[20:21], s[20:21], 3
	s_add_u32 s27, s0, s20
	s_addc_u32 s28, s4, s21
	s_mul_i32 s0, s15, s7
	s_mul_hi_u32 s4, s14, s7
	s_add_i32 s5, s4, s0
	s_mul_i32 s4, s14, s7
	s_lshl_b64 s[14:15], s[4:5], 3
	s_add_u32 s0, s8, s14
	s_addc_u32 s4, s9, s15
	s_lshl_b64 s[24:25], s[10:11], 3
	s_add_u32 s0, s0, s24
	s_addc_u32 s26, s4, s25
	s_ashr_i32 s7, s6, 31
	s_mul_hi_u32 s4, s18, s6
	s_mul_i32 s5, s18, s7
	s_add_i32 s4, s4, s5
	s_mul_i32 s5, s19, s6
	s_add_i32 s5, s4, s5
	s_mul_i32 s4, s18, s6
	s_lshl_b64 s[10:11], s[4:5], 3
	s_mul_hi_u32 s4, s12, s6
	s_mul_i32 s5, s12, s7
	s_add_i32 s4, s4, s5
	s_mul_i32 s5, s13, s6
	s_add_i32 s5, s4, s5
	s_mul_i32 s4, s12, s6
	s_lshl_b64 s[4:5], s[4:5], 3
	s_add_u32 s4, s0, s4
	s_addc_u32 s5, s26, s5
	s_load_dwordx2 s[18:19], s[4:5], 0x0
	v_mov_b32_e32 v1, s28
	v_add_co_u32_e32 v2, vcc, s27, v3
	v_addc_co_u32_e32 v1, vcc, 0, v1, vcc
	v_mov_b32_e32 v4, s11
	v_add_co_u32_e32 v8, vcc, s10, v2
	v_addc_co_u32_e32 v9, vcc, v1, v4, vcc
	s_waitcnt lgkmcnt(0)
	v_mul_f32_e64 v7, s19, 0
	v_mov_b32_e32 v1, s18
	v_fmac_f32_e32 v7, s2, v1
	v_mov_b32_e32 v1, s19
	v_mul_f32_e32 v1, s2, v1
	s_cmp_eq_u32 s3, 0
	v_fma_f32 v10, s18, 0, -v1
	s_mov_b64 s[2:3], -1
	s_cbranch_scc0 .LBB1_8
; %bb.2:
	v_cmp_eq_u32_e32 vcc, 0, v0
	s_and_saveexec_b64 s[2:3], vcc
	s_cbranch_execz .LBB1_4
; %bb.3:
	s_lshl_b64 s[18:19], s[6:7], 3
	v_mov_b32_e32 v2, s19
	v_add_co_u32_e32 v1, vcc, s18, v8
	v_addc_co_u32_e32 v2, vcc, v9, v2, vcc
	global_load_dword v4, v[1:2], off
	s_load_dwordx2 s[18:19], s[4:5], 0x0
	s_waitcnt lgkmcnt(0)
	v_mul_f32_e32 v5, s19, v10
	v_fma_f32 v5, v7, s18, -v5
	s_waitcnt vmcnt(0)
	v_add_f32_e32 v4, v4, v5
	v_mov_b32_e32 v5, 0
	global_store_dwordx2 v[1:2], v[4:5], off
.LBB1_4:
	s_or_b64 exec, exec, s[2:3]
	s_add_i32 s18, s6, 1
	v_add_u32_e32 v4, s18, v0
	v_cmp_gt_i32_e32 vcc, s1, v4
	s_and_saveexec_b64 s[2:3], vcc
	s_cbranch_execz .LBB1_7
; %bb.5:
	s_add_u32 s7, s10, s22
	s_addc_u32 s19, s11, s23
	s_add_u32 s7, s7, s20
	s_addc_u32 s27, s19, s21
	s_ashr_i32 s19, s18, 31
	s_lshl_b64 s[18:19], s[18:19], 3
	s_add_u32 s7, s7, s18
	s_addc_u32 s18, s27, s19
	s_add_u32 s7, s16, s7
	s_addc_u32 s18, s17, s18
	v_mov_b32_e32 v1, s18
	v_add_co_u32_e32 v2, vcc, s7, v3
	v_addc_co_u32_e32 v5, vcc, 0, v1, vcc
	v_add_co_u32_e32 v1, vcc, 4, v2
	v_addc_co_u32_e32 v2, vcc, 0, v5, vcc
	s_mov_b64 s[18:19], 0
	v_mov_b32_e32 v5, s26
.LBB1_6:                                ; =>This Inner Loop Header: Depth=1
	v_ashrrev_i32_e32 v6, 31, v4
	v_mul_lo_u32 v13, s13, v4
	v_mad_u64_u32 v[11:12], s[26:27], s12, v4, 0
	v_mul_lo_u32 v6, s12, v6
	v_add_u32_e32 v4, 0x400, v4
	v_add3_u32 v12, v12, v6, v13
	v_lshlrev_b64 v[11:12], 3, v[11:12]
	v_add_co_u32_e32 v11, vcc, s0, v11
	v_addc_co_u32_e32 v12, vcc, v5, v12, vcc
	global_load_dwordx2 v[13:14], v[11:12], off
	global_load_dwordx2 v[15:16], v[1:2], off offset:-4
	v_cmp_le_i32_e32 vcc, s1, v4
	s_or_b64 s[18:19], vcc, s[18:19]
	s_waitcnt vmcnt(1)
	v_mul_f32_e32 v6, v10, v14
	v_mul_f32_e32 v12, v7, v14
	v_fma_f32 v6, v7, v13, -v6
	v_fmac_f32_e32 v12, v10, v13
	s_waitcnt vmcnt(0)
	v_add_f32_e32 v11, v15, v6
	v_add_f32_e32 v12, v12, v16
	global_store_dwordx2 v[1:2], v[11:12], off offset:-4
	v_add_co_u32_e32 v1, vcc, 0x2000, v1
	v_addc_co_u32_e32 v2, vcc, 0, v2, vcc
	s_andn2_b64 exec, exec, s[18:19]
	s_cbranch_execnz .LBB1_6
.LBB1_7:
	s_or_b64 exec, exec, s[2:3]
	s_mov_b64 s[2:3], 0
.LBB1_8:
	s_and_b64 vcc, exec, s[2:3]
	s_cbranch_vccz .LBB1_15
; %bb.9:
	v_mov_b32_e32 v5, 0
	v_cmp_gt_i32_e32 vcc, s6, v0
	v_mov_b32_e32 v6, 0
	v_mov_b32_e32 v11, v0
	s_and_saveexec_b64 s[0:1], vcc
	s_cbranch_execz .LBB1_13
; %bb.10:
	v_mad_u64_u32 v[1:2], s[2:3], s12, v0, 0
	s_add_u32 s7, s8, s24
	v_mad_u64_u32 v[4:5], s[2:3], s13, v0, v[2:3]
	s_addc_u32 s2, s9, s25
	s_add_u32 s3, s7, s14
	v_mov_b32_e32 v2, v4
	v_lshlrev_b64 v[1:2], 3, v[1:2]
	s_addc_u32 s2, s2, s15
	v_mov_b32_e32 v4, s2
	v_add_co_u32_e32 v1, vcc, s3, v1
	s_lshl_b64 s[2:3], s[12:13], 13
	s_add_u32 s7, s10, s22
	s_addc_u32 s8, s11, s23
	s_add_u32 s7, s7, s20
	v_addc_co_u32_e32 v2, vcc, v4, v2, vcc
	s_addc_u32 s8, s8, s21
	v_add_co_u32_e32 v1, vcc, 4, v1
	s_add_u32 s7, s16, s7
	v_addc_co_u32_e32 v2, vcc, 0, v2, vcc
	s_addc_u32 s8, s17, s8
	v_mov_b32_e32 v4, s8
	v_add_co_u32_e32 v3, vcc, s7, v3
	v_addc_co_u32_e32 v4, vcc, 0, v4, vcc
	v_add_co_u32_e32 v3, vcc, 4, v3
	v_addc_co_u32_e32 v4, vcc, 0, v4, vcc
	s_mov_b32 s7, 0
	s_mov_b64 s[8:9], 0
	v_mov_b32_e32 v6, s3
.LBB1_11:                               ; =>This Inner Loop Header: Depth=1
	global_load_dwordx2 v[12:13], v[1:2], off offset:-4
	global_load_dwordx2 v[14:15], v[3:4], off offset:-4
	s_addk_i32 s7, 0x400
	v_add_co_u32_e32 v1, vcc, s2, v1
	v_addc_co_u32_e32 v2, vcc, v2, v6, vcc
	v_add_u32_e32 v11, s7, v0
	v_cmp_le_i32_e32 vcc, s6, v11
	s_or_b64 s[8:9], vcc, s[8:9]
	v_mov_b32_e32 v5, s7
	s_waitcnt vmcnt(1)
	v_mul_f32_e32 v16, v10, v13
	v_mul_f32_e32 v13, v7, v13
	v_fma_f32 v16, v7, v12, -v16
	v_fmac_f32_e32 v13, v10, v12
	s_waitcnt vmcnt(0)
	v_add_f32_e32 v12, v14, v16
	v_add_f32_e32 v13, v13, v15
	global_store_dwordx2 v[3:4], v[12:13], off offset:-4
	v_add_co_u32_e32 v3, vcc, 0x2000, v3
	v_addc_co_u32_e32 v4, vcc, 0, v4, vcc
	s_andn2_b64 exec, exec, s[8:9]
	s_cbranch_execnz .LBB1_11
; %bb.12:
	s_or_b64 exec, exec, s[8:9]
	v_mov_b32_e32 v6, 0
.LBB1_13:
	s_or_b64 exec, exec, s[0:1]
	v_cmp_eq_u32_e32 vcc, s6, v11
	s_and_saveexec_b64 s[0:1], vcc
	s_cbranch_execz .LBB1_15
; %bb.14:
	v_lshlrev_b64 v[0:1], 3, v[5:6]
	s_load_dwordx2 s[0:1], s[4:5], 0x0
	v_add_co_u32_e32 v0, vcc, v8, v0
	v_addc_co_u32_e32 v1, vcc, v9, v1, vcc
	global_load_dword v2, v[0:1], off
	s_waitcnt lgkmcnt(0)
	v_mul_f32_e32 v3, s1, v10
	v_fma_f32 v3, v7, s0, -v3
	s_waitcnt vmcnt(0)
	v_add_f32_e32 v2, v2, v3
	v_mov_b32_e32 v3, 0
	global_store_dwordx2 v[0:1], v[2:3], off
.LBB1_15:
	s_endpgm
	.section	.rodata,"a",@progbits
	.p2align	6, 0x0
	.amdhsa_kernel _ZL18rocblas_her_kernelILi1024EfPK19rocblas_complex_numIfEPS1_EvbiT0_T1_lllT2_llli
		.amdhsa_group_segment_fixed_size 0
		.amdhsa_private_segment_fixed_size 0
		.amdhsa_kernarg_size 84
		.amdhsa_user_sgpr_count 6
		.amdhsa_user_sgpr_private_segment_buffer 1
		.amdhsa_user_sgpr_dispatch_ptr 0
		.amdhsa_user_sgpr_queue_ptr 0
		.amdhsa_user_sgpr_kernarg_segment_ptr 1
		.amdhsa_user_sgpr_dispatch_id 0
		.amdhsa_user_sgpr_flat_scratch_init 0
		.amdhsa_user_sgpr_private_segment_size 0
		.amdhsa_uses_dynamic_stack 0
		.amdhsa_system_sgpr_private_segment_wavefront_offset 0
		.amdhsa_system_sgpr_workgroup_id_x 1
		.amdhsa_system_sgpr_workgroup_id_y 0
		.amdhsa_system_sgpr_workgroup_id_z 1
		.amdhsa_system_sgpr_workgroup_info 0
		.amdhsa_system_vgpr_workitem_id 0
		.amdhsa_next_free_vgpr 17
		.amdhsa_next_free_sgpr 29
		.amdhsa_reserve_vcc 1
		.amdhsa_reserve_flat_scratch 0
		.amdhsa_float_round_mode_32 0
		.amdhsa_float_round_mode_16_64 0
		.amdhsa_float_denorm_mode_32 3
		.amdhsa_float_denorm_mode_16_64 3
		.amdhsa_dx10_clamp 1
		.amdhsa_ieee_mode 1
		.amdhsa_fp16_overflow 0
		.amdhsa_exception_fp_ieee_invalid_op 0
		.amdhsa_exception_fp_denorm_src 0
		.amdhsa_exception_fp_ieee_div_zero 0
		.amdhsa_exception_fp_ieee_overflow 0
		.amdhsa_exception_fp_ieee_underflow 0
		.amdhsa_exception_fp_ieee_inexact 0
		.amdhsa_exception_int_div_zero 0
	.end_amdhsa_kernel
	.section	.text._ZL18rocblas_her_kernelILi1024EfPK19rocblas_complex_numIfEPS1_EvbiT0_T1_lllT2_llli,"axG",@progbits,_ZL18rocblas_her_kernelILi1024EfPK19rocblas_complex_numIfEPS1_EvbiT0_T1_lllT2_llli,comdat
.Lfunc_end1:
	.size	_ZL18rocblas_her_kernelILi1024EfPK19rocblas_complex_numIfEPS1_EvbiT0_T1_lllT2_llli, .Lfunc_end1-_ZL18rocblas_her_kernelILi1024EfPK19rocblas_complex_numIfEPS1_EvbiT0_T1_lllT2_llli
                                        ; -- End function
	.set _ZL18rocblas_her_kernelILi1024EfPK19rocblas_complex_numIfEPS1_EvbiT0_T1_lllT2_llli.num_vgpr, 17
	.set _ZL18rocblas_her_kernelILi1024EfPK19rocblas_complex_numIfEPS1_EvbiT0_T1_lllT2_llli.num_agpr, 0
	.set _ZL18rocblas_her_kernelILi1024EfPK19rocblas_complex_numIfEPS1_EvbiT0_T1_lllT2_llli.numbered_sgpr, 29
	.set _ZL18rocblas_her_kernelILi1024EfPK19rocblas_complex_numIfEPS1_EvbiT0_T1_lllT2_llli.num_named_barrier, 0
	.set _ZL18rocblas_her_kernelILi1024EfPK19rocblas_complex_numIfEPS1_EvbiT0_T1_lllT2_llli.private_seg_size, 0
	.set _ZL18rocblas_her_kernelILi1024EfPK19rocblas_complex_numIfEPS1_EvbiT0_T1_lllT2_llli.uses_vcc, 1
	.set _ZL18rocblas_her_kernelILi1024EfPK19rocblas_complex_numIfEPS1_EvbiT0_T1_lllT2_llli.uses_flat_scratch, 0
	.set _ZL18rocblas_her_kernelILi1024EfPK19rocblas_complex_numIfEPS1_EvbiT0_T1_lllT2_llli.has_dyn_sized_stack, 0
	.set _ZL18rocblas_her_kernelILi1024EfPK19rocblas_complex_numIfEPS1_EvbiT0_T1_lllT2_llli.has_recursion, 0
	.set _ZL18rocblas_her_kernelILi1024EfPK19rocblas_complex_numIfEPS1_EvbiT0_T1_lllT2_llli.has_indirect_call, 0
	.section	.AMDGPU.csdata,"",@progbits
; Kernel info:
; codeLenInByte = 972
; TotalNumSgprs: 33
; NumVgprs: 17
; ScratchSize: 0
; MemoryBound: 0
; FloatMode: 240
; IeeeMode: 1
; LDSByteSize: 0 bytes/workgroup (compile time only)
; SGPRBlocks: 4
; VGPRBlocks: 4
; NumSGPRsForWavesPerEU: 33
; NumVGPRsForWavesPerEU: 17
; Occupancy: 10
; WaveLimiterHint : 0
; COMPUTE_PGM_RSRC2:SCRATCH_EN: 0
; COMPUTE_PGM_RSRC2:USER_SGPR: 6
; COMPUTE_PGM_RSRC2:TRAP_HANDLER: 0
; COMPUTE_PGM_RSRC2:TGID_X_EN: 1
; COMPUTE_PGM_RSRC2:TGID_Y_EN: 0
; COMPUTE_PGM_RSRC2:TGID_Z_EN: 1
; COMPUTE_PGM_RSRC2:TIDIG_COMP_CNT: 0
	.section	.text._ZL18rocblas_her_kernelILi1024EPKdPK19rocblas_complex_numIdEPS3_EvbiT0_T1_lllT2_llli,"axG",@progbits,_ZL18rocblas_her_kernelILi1024EPKdPK19rocblas_complex_numIdEPS3_EvbiT0_T1_lllT2_llli,comdat
	.globl	_ZL18rocblas_her_kernelILi1024EPKdPK19rocblas_complex_numIdEPS3_EvbiT0_T1_lllT2_llli ; -- Begin function _ZL18rocblas_her_kernelILi1024EPKdPK19rocblas_complex_numIdEPS3_EvbiT0_T1_lllT2_llli
	.p2align	8
	.type	_ZL18rocblas_her_kernelILi1024EPKdPK19rocblas_complex_numIdEPS3_EvbiT0_T1_lllT2_llli,@function
_ZL18rocblas_her_kernelILi1024EPKdPK19rocblas_complex_numIdEPS3_EvbiT0_T1_lllT2_llli: ; @_ZL18rocblas_her_kernelILi1024EPKdPK19rocblas_complex_numIdEPS3_EvbiT0_T1_lllT2_llli
; %bb.0:
	s_load_dwordx16 s[8:23], s[4:5], 0x8
	s_waitcnt lgkmcnt(0)
	s_load_dwordx2 s[26:27], s[8:9], 0x0
	s_waitcnt lgkmcnt(0)
	v_cmp_eq_f64_e64 s[0:1], s[26:27], 0
	s_and_b64 vcc, exec, s[0:1]
	s_cbranch_vccnz .LBB2_15
; %bb.1:
	s_load_dwordx2 s[24:25], s[4:5], 0x0
	s_load_dwordx2 s[0:1], s[4:5], 0x48
	s_waitcnt lgkmcnt(0)
	s_and_b32 s29, s24, 1
	s_mul_i32 s1, s1, s7
	s_mul_hi_u32 s2, s0, s7
	s_mul_i32 s0, s0, s7
	s_add_i32 s1, s2, s1
	s_lshl_b64 s[4:5], s[0:1], 4
	s_add_u32 s0, s18, s4
	s_addc_u32 s1, s19, s5
	s_lshl_b64 s[8:9], s[22:23], 4
	s_add_u32 s30, s0, s8
	s_addc_u32 s31, s1, s9
	s_mul_i32 s0, s17, s7
	s_mul_hi_u32 s1, s16, s7
	s_add_i32 s1, s1, s0
	s_mul_i32 s0, s16, s7
	s_lshl_b64 s[16:17], s[0:1], 4
	s_add_u32 s0, s10, s16
	s_addc_u32 s1, s11, s17
	s_lshl_b64 s[22:23], s[12:13], 4
	s_add_u32 s24, s0, s22
	s_addc_u32 s28, s1, s23
	s_ashr_i32 s7, s6, 31
	s_mul_hi_u32 s0, s20, s6
	s_mul_i32 s1, s20, s7
	s_add_i32 s0, s0, s1
	s_mul_i32 s1, s21, s6
	s_add_i32 s1, s0, s1
	s_mul_i32 s0, s20, s6
	s_lshl_b64 s[12:13], s[0:1], 4
	s_mul_hi_u32 s0, s14, s6
	s_mul_i32 s1, s14, s7
	s_add_i32 s0, s0, s1
	s_mul_i32 s1, s15, s6
	s_add_i32 s1, s0, s1
	s_mul_i32 s0, s14, s6
	s_lshl_b64 s[0:1], s[0:1], 4
	s_add_u32 s20, s24, s0
	s_addc_u32 s21, s28, s1
	s_load_dwordx4 s[0:3], s[20:21], 0x0
	v_cmp_gt_i32_e32 vcc, s25, v0
	v_cndmask_b32_e32 v5, 0, v0, vcc
	v_lshlrev_b32_e32 v7, 4, v5
	v_mov_b32_e32 v8, s31
	s_waitcnt lgkmcnt(0)
	v_mov_b32_e32 v4, s3
	v_mov_b32_e32 v3, s2
	v_mul_f64 v[1:2], s[2:3], 0
	v_mul_f64 v[3:4], s[26:27], v[3:4]
	v_mov_b32_e32 v6, s1
	v_mov_b32_e32 v5, s0
	s_cmp_eq_u32 s29, 0
	s_mov_b64 s[20:21], -1
	v_fma_f64 v[1:2], s[26:27], v[5:6], v[1:2]
	v_fma_f64 v[3:4], s[0:1], 0, -v[3:4]
	v_add_co_u32_e32 v5, vcc, s30, v7
	v_addc_co_u32_e32 v6, vcc, 0, v8, vcc
	v_mov_b32_e32 v8, s13
	v_add_co_u32_e32 v11, vcc, s12, v5
	v_addc_co_u32_e32 v12, vcc, v6, v8, vcc
	s_cbranch_scc0 .LBB2_8
; %bb.2:
	v_cmp_eq_u32_e32 vcc, 0, v0
	s_and_saveexec_b64 s[20:21], vcc
	s_cbranch_execz .LBB2_4
; %bb.3:
	s_lshl_b64 s[26:27], s[6:7], 4
	v_mov_b32_e32 v6, s27
	v_add_co_u32_e32 v5, vcc, s26, v11
	v_addc_co_u32_e32 v6, vcc, v12, v6, vcc
	global_load_dwordx2 v[8:9], v[5:6], off
	v_mul_f64 v[13:14], s[2:3], v[3:4]
	v_mov_b32_e32 v15, 0
	v_mov_b32_e32 v16, v15
	v_fma_f64 v[13:14], s[0:1], v[1:2], -v[13:14]
	s_waitcnt vmcnt(0)
	v_add_f64 v[13:14], v[13:14], v[8:9]
	global_store_dwordx4 v[5:6], v[13:16], off
.LBB2_4:
	s_or_b64 exec, exec, s[20:21]
	s_add_i32 s26, s6, 1
	v_add_u32_e32 v8, s26, v0
	v_cmp_gt_i32_e32 vcc, s25, v8
	s_and_saveexec_b64 s[20:21], vcc
	s_cbranch_execz .LBB2_7
; %bb.5:
	s_add_u32 s7, s12, s4
	s_addc_u32 s27, s13, s5
	s_add_u32 s7, s7, s8
	s_addc_u32 s29, s27, s9
	s_ashr_i32 s27, s26, 31
	s_lshl_b64 s[26:27], s[26:27], 4
	s_add_u32 s7, s7, s26
	s_addc_u32 s26, s29, s27
	s_add_u32 s7, s18, s7
	s_addc_u32 s26, s19, s26
	v_mov_b32_e32 v5, s26
	v_add_co_u32_e32 v6, vcc, s7, v7
	v_addc_co_u32_e32 v9, vcc, 0, v5, vcc
	v_add_co_u32_e32 v5, vcc, 8, v6
	v_addc_co_u32_e32 v6, vcc, 0, v9, vcc
	s_mov_b64 s[26:27], 0
	v_mov_b32_e32 v9, s28
.LBB2_6:                                ; =>This Inner Loop Header: Depth=1
	v_ashrrev_i32_e32 v10, 31, v8
	v_mul_lo_u32 v15, s15, v8
	v_mad_u64_u32 v[13:14], s[28:29], s14, v8, 0
	v_mul_lo_u32 v10, s14, v10
	v_add_u32_e32 v8, 0x400, v8
	v_add3_u32 v14, v14, v10, v15
	v_lshlrev_b64 v[13:14], 4, v[13:14]
	v_add_co_u32_e32 v21, vcc, s24, v13
	v_addc_co_u32_e32 v22, vcc, v9, v14, vcc
	global_load_dwordx4 v[13:16], v[21:22], off
	global_load_dwordx4 v[17:20], v[5:6], off offset:-8
	v_cmp_le_i32_e32 vcc, s25, v8
	s_or_b64 s[26:27], vcc, s[26:27]
	s_waitcnt vmcnt(1)
	v_mul_f64 v[21:22], v[3:4], v[15:16]
	v_mul_f64 v[15:16], v[1:2], v[15:16]
	v_fma_f64 v[21:22], v[1:2], v[13:14], -v[21:22]
	v_fma_f64 v[15:16], v[3:4], v[13:14], v[15:16]
	s_waitcnt vmcnt(0)
	v_add_f64 v[13:14], v[17:18], v[21:22]
	v_add_f64 v[15:16], v[15:16], v[19:20]
	global_store_dwordx4 v[5:6], v[13:16], off offset:-8
	v_add_co_u32_e32 v5, vcc, 0x4000, v5
	v_addc_co_u32_e32 v6, vcc, 0, v6, vcc
	s_andn2_b64 exec, exec, s[26:27]
	s_cbranch_execnz .LBB2_6
.LBB2_7:
	s_or_b64 exec, exec, s[20:21]
	s_mov_b64 s[20:21], 0
.LBB2_8:
	s_and_b64 vcc, exec, s[20:21]
	s_cbranch_vccz .LBB2_15
; %bb.9:
	v_mov_b32_e32 v9, 0
	v_cmp_gt_i32_e32 vcc, s6, v0
	v_mov_b32_e32 v10, 0
	v_mov_b32_e32 v13, v0
	s_and_saveexec_b64 s[20:21], vcc
	s_cbranch_execz .LBB2_13
; %bb.10:
	v_mad_u64_u32 v[5:6], s[24:25], s14, v0, 0
	s_add_u32 s7, s10, s22
	s_addc_u32 s10, s11, s23
	v_mad_u64_u32 v[8:9], s[24:25], s15, v0, v[6:7]
	s_add_u32 s7, s7, s16
	s_addc_u32 s10, s10, s17
	v_mov_b32_e32 v6, v8
	v_mov_b32_e32 v8, s10
	s_lshl_b64 s[10:11], s[14:15], 14
	v_lshlrev_b64 v[5:6], 4, v[5:6]
	s_add_u32 s4, s12, s4
	s_addc_u32 s5, s13, s5
	v_add_co_u32_e32 v5, vcc, s7, v5
	s_add_u32 s4, s4, s8
	v_addc_co_u32_e32 v6, vcc, v8, v6, vcc
	s_addc_u32 s5, s5, s9
	v_add_co_u32_e32 v5, vcc, 8, v5
	s_add_u32 s4, s18, s4
	v_addc_co_u32_e32 v6, vcc, 0, v6, vcc
	s_addc_u32 s5, s19, s5
	v_mov_b32_e32 v8, s5
	v_add_co_u32_e32 v7, vcc, s4, v7
	v_addc_co_u32_e32 v8, vcc, 0, v8, vcc
	v_add_co_u32_e32 v7, vcc, 8, v7
	v_addc_co_u32_e32 v8, vcc, 0, v8, vcc
	s_mov_b32 s7, 0
	s_mov_b64 s[4:5], 0
	v_mov_b32_e32 v10, s11
.LBB2_11:                               ; =>This Inner Loop Header: Depth=1
	global_load_dwordx4 v[13:16], v[5:6], off offset:-8
	s_addk_i32 s7, 0x400
	v_add_co_u32_e32 v5, vcc, s10, v5
	v_addc_co_u32_e32 v6, vcc, v6, v10, vcc
	v_mov_b32_e32 v9, s7
	s_waitcnt vmcnt(0)
	v_mul_f64 v[17:18], v[3:4], v[15:16]
	v_mul_f64 v[15:16], v[1:2], v[15:16]
	v_fma_f64 v[17:18], v[1:2], v[13:14], -v[17:18]
	v_fma_f64 v[19:20], v[3:4], v[13:14], v[15:16]
	global_load_dwordx4 v[13:16], v[7:8], off offset:-8
	s_waitcnt vmcnt(0)
	v_add_f64 v[17:18], v[13:14], v[17:18]
	v_add_f64 v[19:20], v[19:20], v[15:16]
	v_add_u32_e32 v13, s7, v0
	v_cmp_le_i32_e32 vcc, s6, v13
	s_or_b64 s[4:5], vcc, s[4:5]
	global_store_dwordx4 v[7:8], v[17:20], off offset:-8
	v_add_co_u32_e32 v7, vcc, 0x4000, v7
	v_addc_co_u32_e32 v8, vcc, 0, v8, vcc
	s_andn2_b64 exec, exec, s[4:5]
	s_cbranch_execnz .LBB2_11
; %bb.12:
	s_or_b64 exec, exec, s[4:5]
	v_mov_b32_e32 v10, 0
.LBB2_13:
	s_or_b64 exec, exec, s[20:21]
	v_cmp_eq_u32_e32 vcc, s6, v13
	s_and_saveexec_b64 s[4:5], vcc
	s_cbranch_execz .LBB2_15
; %bb.14:
	v_lshlrev_b64 v[5:6], 4, v[9:10]
	v_mul_f64 v[3:4], s[2:3], v[3:4]
	v_add_co_u32_e32 v5, vcc, v11, v5
	v_addc_co_u32_e32 v6, vcc, v12, v6, vcc
	global_load_dwordx2 v[7:8], v[5:6], off
	v_fma_f64 v[0:1], s[0:1], v[1:2], -v[3:4]
	v_mov_b32_e32 v2, 0
	v_mov_b32_e32 v3, v2
	s_waitcnt vmcnt(0)
	v_add_f64 v[0:1], v[0:1], v[7:8]
	global_store_dwordx4 v[5:6], v[0:3], off
.LBB2_15:
	s_endpgm
	.section	.rodata,"a",@progbits
	.p2align	6, 0x0
	.amdhsa_kernel _ZL18rocblas_her_kernelILi1024EPKdPK19rocblas_complex_numIdEPS3_EvbiT0_T1_lllT2_llli
		.amdhsa_group_segment_fixed_size 0
		.amdhsa_private_segment_fixed_size 0
		.amdhsa_kernarg_size 84
		.amdhsa_user_sgpr_count 6
		.amdhsa_user_sgpr_private_segment_buffer 1
		.amdhsa_user_sgpr_dispatch_ptr 0
		.amdhsa_user_sgpr_queue_ptr 0
		.amdhsa_user_sgpr_kernarg_segment_ptr 1
		.amdhsa_user_sgpr_dispatch_id 0
		.amdhsa_user_sgpr_flat_scratch_init 0
		.amdhsa_user_sgpr_private_segment_size 0
		.amdhsa_uses_dynamic_stack 0
		.amdhsa_system_sgpr_private_segment_wavefront_offset 0
		.amdhsa_system_sgpr_workgroup_id_x 1
		.amdhsa_system_sgpr_workgroup_id_y 0
		.amdhsa_system_sgpr_workgroup_id_z 1
		.amdhsa_system_sgpr_workgroup_info 0
		.amdhsa_system_vgpr_workitem_id 0
		.amdhsa_next_free_vgpr 23
		.amdhsa_next_free_sgpr 32
		.amdhsa_reserve_vcc 1
		.amdhsa_reserve_flat_scratch 0
		.amdhsa_float_round_mode_32 0
		.amdhsa_float_round_mode_16_64 0
		.amdhsa_float_denorm_mode_32 3
		.amdhsa_float_denorm_mode_16_64 3
		.amdhsa_dx10_clamp 1
		.amdhsa_ieee_mode 1
		.amdhsa_fp16_overflow 0
		.amdhsa_exception_fp_ieee_invalid_op 0
		.amdhsa_exception_fp_denorm_src 0
		.amdhsa_exception_fp_ieee_div_zero 0
		.amdhsa_exception_fp_ieee_overflow 0
		.amdhsa_exception_fp_ieee_underflow 0
		.amdhsa_exception_fp_ieee_inexact 0
		.amdhsa_exception_int_div_zero 0
	.end_amdhsa_kernel
	.section	.text._ZL18rocblas_her_kernelILi1024EPKdPK19rocblas_complex_numIdEPS3_EvbiT0_T1_lllT2_llli,"axG",@progbits,_ZL18rocblas_her_kernelILi1024EPKdPK19rocblas_complex_numIdEPS3_EvbiT0_T1_lllT2_llli,comdat
.Lfunc_end2:
	.size	_ZL18rocblas_her_kernelILi1024EPKdPK19rocblas_complex_numIdEPS3_EvbiT0_T1_lllT2_llli, .Lfunc_end2-_ZL18rocblas_her_kernelILi1024EPKdPK19rocblas_complex_numIdEPS3_EvbiT0_T1_lllT2_llli
                                        ; -- End function
	.set _ZL18rocblas_her_kernelILi1024EPKdPK19rocblas_complex_numIdEPS3_EvbiT0_T1_lllT2_llli.num_vgpr, 23
	.set _ZL18rocblas_her_kernelILi1024EPKdPK19rocblas_complex_numIdEPS3_EvbiT0_T1_lllT2_llli.num_agpr, 0
	.set _ZL18rocblas_her_kernelILi1024EPKdPK19rocblas_complex_numIdEPS3_EvbiT0_T1_lllT2_llli.numbered_sgpr, 32
	.set _ZL18rocblas_her_kernelILi1024EPKdPK19rocblas_complex_numIdEPS3_EvbiT0_T1_lllT2_llli.num_named_barrier, 0
	.set _ZL18rocblas_her_kernelILi1024EPKdPK19rocblas_complex_numIdEPS3_EvbiT0_T1_lllT2_llli.private_seg_size, 0
	.set _ZL18rocblas_her_kernelILi1024EPKdPK19rocblas_complex_numIdEPS3_EvbiT0_T1_lllT2_llli.uses_vcc, 1
	.set _ZL18rocblas_her_kernelILi1024EPKdPK19rocblas_complex_numIdEPS3_EvbiT0_T1_lllT2_llli.uses_flat_scratch, 0
	.set _ZL18rocblas_her_kernelILi1024EPKdPK19rocblas_complex_numIdEPS3_EvbiT0_T1_lllT2_llli.has_dyn_sized_stack, 0
	.set _ZL18rocblas_her_kernelILi1024EPKdPK19rocblas_complex_numIdEPS3_EvbiT0_T1_lllT2_llli.has_recursion, 0
	.set _ZL18rocblas_her_kernelILi1024EPKdPK19rocblas_complex_numIdEPS3_EvbiT0_T1_lllT2_llli.has_indirect_call, 0
	.section	.AMDGPU.csdata,"",@progbits
; Kernel info:
; codeLenInByte = 1048
; TotalNumSgprs: 36
; NumVgprs: 23
; ScratchSize: 0
; MemoryBound: 0
; FloatMode: 240
; IeeeMode: 1
; LDSByteSize: 0 bytes/workgroup (compile time only)
; SGPRBlocks: 4
; VGPRBlocks: 5
; NumSGPRsForWavesPerEU: 36
; NumVGPRsForWavesPerEU: 23
; Occupancy: 10
; WaveLimiterHint : 1
; COMPUTE_PGM_RSRC2:SCRATCH_EN: 0
; COMPUTE_PGM_RSRC2:USER_SGPR: 6
; COMPUTE_PGM_RSRC2:TRAP_HANDLER: 0
; COMPUTE_PGM_RSRC2:TGID_X_EN: 1
; COMPUTE_PGM_RSRC2:TGID_Y_EN: 0
; COMPUTE_PGM_RSRC2:TGID_Z_EN: 1
; COMPUTE_PGM_RSRC2:TIDIG_COMP_CNT: 0
	.section	.text._ZL18rocblas_her_kernelILi1024EdPK19rocblas_complex_numIdEPS1_EvbiT0_T1_lllT2_llli,"axG",@progbits,_ZL18rocblas_her_kernelILi1024EdPK19rocblas_complex_numIdEPS1_EvbiT0_T1_lllT2_llli,comdat
	.globl	_ZL18rocblas_her_kernelILi1024EdPK19rocblas_complex_numIdEPS1_EvbiT0_T1_lllT2_llli ; -- Begin function _ZL18rocblas_her_kernelILi1024EdPK19rocblas_complex_numIdEPS1_EvbiT0_T1_lllT2_llli
	.p2align	8
	.type	_ZL18rocblas_her_kernelILi1024EdPK19rocblas_complex_numIdEPS1_EvbiT0_T1_lllT2_llli,@function
_ZL18rocblas_her_kernelILi1024EdPK19rocblas_complex_numIdEPS1_EvbiT0_T1_lllT2_llli: ; @_ZL18rocblas_her_kernelILi1024EdPK19rocblas_complex_numIdEPS1_EvbiT0_T1_lllT2_llli
; %bb.0:
	s_load_dwordx16 s[8:23], s[4:5], 0x8
	s_waitcnt lgkmcnt(0)
	v_cmp_eq_f64_e64 s[0:1], s[8:9], 0
	s_and_b64 vcc, exec, s[0:1]
	s_cbranch_vccnz .LBB3_15
; %bb.1:
	s_load_dwordx2 s[24:25], s[4:5], 0x0
	s_load_dwordx2 s[0:1], s[4:5], 0x48
	s_waitcnt lgkmcnt(0)
	s_and_b32 s29, s24, 1
	s_mul_i32 s1, s1, s7
	s_mul_hi_u32 s2, s0, s7
	s_mul_i32 s0, s0, s7
	s_add_i32 s1, s2, s1
	s_lshl_b64 s[4:5], s[0:1], 4
	s_add_u32 s0, s18, s4
	s_addc_u32 s1, s19, s5
	s_lshl_b64 s[22:23], s[22:23], 4
	s_add_u32 s30, s0, s22
	s_addc_u32 s31, s1, s23
	s_mul_i32 s0, s17, s7
	s_mul_hi_u32 s1, s16, s7
	s_add_i32 s1, s1, s0
	s_mul_i32 s0, s16, s7
	s_lshl_b64 s[16:17], s[0:1], 4
	s_add_u32 s0, s10, s16
	s_addc_u32 s1, s11, s17
	s_lshl_b64 s[26:27], s[12:13], 4
	s_add_u32 s24, s0, s26
	s_addc_u32 s28, s1, s27
	s_ashr_i32 s7, s6, 31
	s_mul_hi_u32 s0, s20, s6
	s_mul_i32 s1, s20, s7
	s_add_i32 s0, s0, s1
	s_mul_i32 s1, s21, s6
	s_add_i32 s1, s0, s1
	s_mul_i32 s0, s20, s6
	s_lshl_b64 s[12:13], s[0:1], 4
	s_mul_hi_u32 s0, s14, s6
	s_mul_i32 s1, s14, s7
	s_add_i32 s0, s0, s1
	s_mul_i32 s1, s15, s6
	s_add_i32 s1, s0, s1
	s_mul_i32 s0, s14, s6
	s_lshl_b64 s[0:1], s[0:1], 4
	s_add_u32 s20, s24, s0
	s_addc_u32 s21, s28, s1
	s_load_dwordx4 s[0:3], s[20:21], 0x0
	v_cmp_gt_i32_e32 vcc, s25, v0
	v_cndmask_b32_e32 v5, 0, v0, vcc
	v_lshlrev_b32_e32 v7, 4, v5
	v_mov_b32_e32 v8, s31
	s_waitcnt lgkmcnt(0)
	v_mov_b32_e32 v4, s3
	v_mov_b32_e32 v3, s2
	v_mul_f64 v[1:2], s[2:3], 0
	v_mul_f64 v[3:4], s[8:9], v[3:4]
	v_mov_b32_e32 v6, s1
	v_mov_b32_e32 v5, s0
	s_cmp_eq_u32 s29, 0
	v_fma_f64 v[1:2], s[8:9], v[5:6], v[1:2]
	v_fma_f64 v[3:4], s[0:1], 0, -v[3:4]
	v_add_co_u32_e32 v5, vcc, s30, v7
	v_addc_co_u32_e32 v6, vcc, 0, v8, vcc
	v_mov_b32_e32 v8, s13
	v_add_co_u32_e32 v11, vcc, s12, v5
	v_addc_co_u32_e32 v12, vcc, v6, v8, vcc
	s_mov_b64 s[8:9], -1
	s_cbranch_scc0 .LBB3_8
; %bb.2:
	v_cmp_eq_u32_e32 vcc, 0, v0
	s_and_saveexec_b64 s[8:9], vcc
	s_cbranch_execz .LBB3_4
; %bb.3:
	s_lshl_b64 s[20:21], s[6:7], 4
	v_mov_b32_e32 v6, s21
	v_add_co_u32_e32 v5, vcc, s20, v11
	v_addc_co_u32_e32 v6, vcc, v12, v6, vcc
	global_load_dwordx2 v[8:9], v[5:6], off
	v_mul_f64 v[13:14], s[2:3], v[3:4]
	v_mov_b32_e32 v15, 0
	v_mov_b32_e32 v16, v15
	v_fma_f64 v[13:14], s[0:1], v[1:2], -v[13:14]
	s_waitcnt vmcnt(0)
	v_add_f64 v[13:14], v[13:14], v[8:9]
	global_store_dwordx4 v[5:6], v[13:16], off
.LBB3_4:
	s_or_b64 exec, exec, s[8:9]
	s_add_i32 s20, s6, 1
	v_add_u32_e32 v8, s20, v0
	v_cmp_gt_i32_e32 vcc, s25, v8
	s_and_saveexec_b64 s[8:9], vcc
	s_cbranch_execz .LBB3_7
; %bb.5:
	s_add_u32 s7, s12, s4
	s_addc_u32 s21, s13, s5
	s_add_u32 s7, s7, s22
	s_addc_u32 s29, s21, s23
	s_ashr_i32 s21, s20, 31
	s_lshl_b64 s[20:21], s[20:21], 4
	s_add_u32 s7, s7, s20
	s_addc_u32 s20, s29, s21
	s_add_u32 s7, s18, s7
	s_addc_u32 s20, s19, s20
	v_mov_b32_e32 v5, s20
	v_add_co_u32_e32 v6, vcc, s7, v7
	v_addc_co_u32_e32 v9, vcc, 0, v5, vcc
	v_add_co_u32_e32 v5, vcc, 8, v6
	v_addc_co_u32_e32 v6, vcc, 0, v9, vcc
	s_mov_b64 s[20:21], 0
	v_mov_b32_e32 v9, s28
.LBB3_6:                                ; =>This Inner Loop Header: Depth=1
	v_ashrrev_i32_e32 v10, 31, v8
	v_mul_lo_u32 v15, s15, v8
	v_mad_u64_u32 v[13:14], s[28:29], s14, v8, 0
	v_mul_lo_u32 v10, s14, v10
	v_add_u32_e32 v8, 0x400, v8
	v_add3_u32 v14, v14, v10, v15
	v_lshlrev_b64 v[13:14], 4, v[13:14]
	v_add_co_u32_e32 v21, vcc, s24, v13
	v_addc_co_u32_e32 v22, vcc, v9, v14, vcc
	global_load_dwordx4 v[13:16], v[21:22], off
	global_load_dwordx4 v[17:20], v[5:6], off offset:-8
	v_cmp_le_i32_e32 vcc, s25, v8
	s_or_b64 s[20:21], vcc, s[20:21]
	s_waitcnt vmcnt(1)
	v_mul_f64 v[21:22], v[3:4], v[15:16]
	v_mul_f64 v[15:16], v[1:2], v[15:16]
	v_fma_f64 v[21:22], v[1:2], v[13:14], -v[21:22]
	v_fma_f64 v[15:16], v[3:4], v[13:14], v[15:16]
	s_waitcnt vmcnt(0)
	v_add_f64 v[13:14], v[17:18], v[21:22]
	v_add_f64 v[15:16], v[15:16], v[19:20]
	global_store_dwordx4 v[5:6], v[13:16], off offset:-8
	v_add_co_u32_e32 v5, vcc, 0x4000, v5
	v_addc_co_u32_e32 v6, vcc, 0, v6, vcc
	s_andn2_b64 exec, exec, s[20:21]
	s_cbranch_execnz .LBB3_6
.LBB3_7:
	s_or_b64 exec, exec, s[8:9]
	s_mov_b64 s[8:9], 0
.LBB3_8:
	s_and_b64 vcc, exec, s[8:9]
	s_cbranch_vccz .LBB3_15
; %bb.9:
	v_mov_b32_e32 v9, 0
	v_cmp_gt_i32_e32 vcc, s6, v0
	v_mov_b32_e32 v10, 0
	v_mov_b32_e32 v13, v0
	s_and_saveexec_b64 s[8:9], vcc
	s_cbranch_execz .LBB3_13
; %bb.10:
	v_mad_u64_u32 v[5:6], s[20:21], s14, v0, 0
	s_add_u32 s7, s10, s26
	s_addc_u32 s10, s11, s27
	v_mad_u64_u32 v[8:9], s[20:21], s15, v0, v[6:7]
	s_add_u32 s7, s7, s16
	s_addc_u32 s10, s10, s17
	v_mov_b32_e32 v6, v8
	v_mov_b32_e32 v8, s10
	s_lshl_b64 s[10:11], s[14:15], 14
	v_lshlrev_b64 v[5:6], 4, v[5:6]
	s_add_u32 s4, s12, s4
	s_addc_u32 s5, s13, s5
	v_add_co_u32_e32 v5, vcc, s7, v5
	s_add_u32 s4, s4, s22
	v_addc_co_u32_e32 v6, vcc, v8, v6, vcc
	s_addc_u32 s5, s5, s23
	v_add_co_u32_e32 v5, vcc, 8, v5
	s_add_u32 s4, s18, s4
	v_addc_co_u32_e32 v6, vcc, 0, v6, vcc
	s_addc_u32 s5, s19, s5
	v_mov_b32_e32 v8, s5
	v_add_co_u32_e32 v7, vcc, s4, v7
	v_addc_co_u32_e32 v8, vcc, 0, v8, vcc
	v_add_co_u32_e32 v7, vcc, 8, v7
	v_addc_co_u32_e32 v8, vcc, 0, v8, vcc
	s_mov_b32 s7, 0
	s_mov_b64 s[4:5], 0
	v_mov_b32_e32 v10, s11
.LBB3_11:                               ; =>This Inner Loop Header: Depth=1
	global_load_dwordx4 v[13:16], v[5:6], off offset:-8
	s_addk_i32 s7, 0x400
	v_add_co_u32_e32 v5, vcc, s10, v5
	v_addc_co_u32_e32 v6, vcc, v6, v10, vcc
	v_mov_b32_e32 v9, s7
	s_waitcnt vmcnt(0)
	v_mul_f64 v[17:18], v[3:4], v[15:16]
	v_mul_f64 v[15:16], v[1:2], v[15:16]
	v_fma_f64 v[17:18], v[1:2], v[13:14], -v[17:18]
	v_fma_f64 v[19:20], v[3:4], v[13:14], v[15:16]
	global_load_dwordx4 v[13:16], v[7:8], off offset:-8
	s_waitcnt vmcnt(0)
	v_add_f64 v[17:18], v[13:14], v[17:18]
	v_add_f64 v[19:20], v[19:20], v[15:16]
	v_add_u32_e32 v13, s7, v0
	v_cmp_le_i32_e32 vcc, s6, v13
	s_or_b64 s[4:5], vcc, s[4:5]
	global_store_dwordx4 v[7:8], v[17:20], off offset:-8
	v_add_co_u32_e32 v7, vcc, 0x4000, v7
	v_addc_co_u32_e32 v8, vcc, 0, v8, vcc
	s_andn2_b64 exec, exec, s[4:5]
	s_cbranch_execnz .LBB3_11
; %bb.12:
	s_or_b64 exec, exec, s[4:5]
	v_mov_b32_e32 v10, 0
.LBB3_13:
	s_or_b64 exec, exec, s[8:9]
	v_cmp_eq_u32_e32 vcc, s6, v13
	s_and_saveexec_b64 s[4:5], vcc
	s_cbranch_execz .LBB3_15
; %bb.14:
	v_lshlrev_b64 v[5:6], 4, v[9:10]
	v_mul_f64 v[3:4], s[2:3], v[3:4]
	v_add_co_u32_e32 v5, vcc, v11, v5
	v_addc_co_u32_e32 v6, vcc, v12, v6, vcc
	global_load_dwordx2 v[7:8], v[5:6], off
	v_fma_f64 v[0:1], s[0:1], v[1:2], -v[3:4]
	v_mov_b32_e32 v2, 0
	v_mov_b32_e32 v3, v2
	s_waitcnt vmcnt(0)
	v_add_f64 v[0:1], v[0:1], v[7:8]
	global_store_dwordx4 v[5:6], v[0:3], off
.LBB3_15:
	s_endpgm
	.section	.rodata,"a",@progbits
	.p2align	6, 0x0
	.amdhsa_kernel _ZL18rocblas_her_kernelILi1024EdPK19rocblas_complex_numIdEPS1_EvbiT0_T1_lllT2_llli
		.amdhsa_group_segment_fixed_size 0
		.amdhsa_private_segment_fixed_size 0
		.amdhsa_kernarg_size 84
		.amdhsa_user_sgpr_count 6
		.amdhsa_user_sgpr_private_segment_buffer 1
		.amdhsa_user_sgpr_dispatch_ptr 0
		.amdhsa_user_sgpr_queue_ptr 0
		.amdhsa_user_sgpr_kernarg_segment_ptr 1
		.amdhsa_user_sgpr_dispatch_id 0
		.amdhsa_user_sgpr_flat_scratch_init 0
		.amdhsa_user_sgpr_private_segment_size 0
		.amdhsa_uses_dynamic_stack 0
		.amdhsa_system_sgpr_private_segment_wavefront_offset 0
		.amdhsa_system_sgpr_workgroup_id_x 1
		.amdhsa_system_sgpr_workgroup_id_y 0
		.amdhsa_system_sgpr_workgroup_id_z 1
		.amdhsa_system_sgpr_workgroup_info 0
		.amdhsa_system_vgpr_workitem_id 0
		.amdhsa_next_free_vgpr 23
		.amdhsa_next_free_sgpr 32
		.amdhsa_reserve_vcc 1
		.amdhsa_reserve_flat_scratch 0
		.amdhsa_float_round_mode_32 0
		.amdhsa_float_round_mode_16_64 0
		.amdhsa_float_denorm_mode_32 3
		.amdhsa_float_denorm_mode_16_64 3
		.amdhsa_dx10_clamp 1
		.amdhsa_ieee_mode 1
		.amdhsa_fp16_overflow 0
		.amdhsa_exception_fp_ieee_invalid_op 0
		.amdhsa_exception_fp_denorm_src 0
		.amdhsa_exception_fp_ieee_div_zero 0
		.amdhsa_exception_fp_ieee_overflow 0
		.amdhsa_exception_fp_ieee_underflow 0
		.amdhsa_exception_fp_ieee_inexact 0
		.amdhsa_exception_int_div_zero 0
	.end_amdhsa_kernel
	.section	.text._ZL18rocblas_her_kernelILi1024EdPK19rocblas_complex_numIdEPS1_EvbiT0_T1_lllT2_llli,"axG",@progbits,_ZL18rocblas_her_kernelILi1024EdPK19rocblas_complex_numIdEPS1_EvbiT0_T1_lllT2_llli,comdat
.Lfunc_end3:
	.size	_ZL18rocblas_her_kernelILi1024EdPK19rocblas_complex_numIdEPS1_EvbiT0_T1_lllT2_llli, .Lfunc_end3-_ZL18rocblas_her_kernelILi1024EdPK19rocblas_complex_numIdEPS1_EvbiT0_T1_lllT2_llli
                                        ; -- End function
	.set _ZL18rocblas_her_kernelILi1024EdPK19rocblas_complex_numIdEPS1_EvbiT0_T1_lllT2_llli.num_vgpr, 23
	.set _ZL18rocblas_her_kernelILi1024EdPK19rocblas_complex_numIdEPS1_EvbiT0_T1_lllT2_llli.num_agpr, 0
	.set _ZL18rocblas_her_kernelILi1024EdPK19rocblas_complex_numIdEPS1_EvbiT0_T1_lllT2_llli.numbered_sgpr, 32
	.set _ZL18rocblas_her_kernelILi1024EdPK19rocblas_complex_numIdEPS1_EvbiT0_T1_lllT2_llli.num_named_barrier, 0
	.set _ZL18rocblas_her_kernelILi1024EdPK19rocblas_complex_numIdEPS1_EvbiT0_T1_lllT2_llli.private_seg_size, 0
	.set _ZL18rocblas_her_kernelILi1024EdPK19rocblas_complex_numIdEPS1_EvbiT0_T1_lllT2_llli.uses_vcc, 1
	.set _ZL18rocblas_her_kernelILi1024EdPK19rocblas_complex_numIdEPS1_EvbiT0_T1_lllT2_llli.uses_flat_scratch, 0
	.set _ZL18rocblas_her_kernelILi1024EdPK19rocblas_complex_numIdEPS1_EvbiT0_T1_lllT2_llli.has_dyn_sized_stack, 0
	.set _ZL18rocblas_her_kernelILi1024EdPK19rocblas_complex_numIdEPS1_EvbiT0_T1_lllT2_llli.has_recursion, 0
	.set _ZL18rocblas_her_kernelILi1024EdPK19rocblas_complex_numIdEPS1_EvbiT0_T1_lllT2_llli.has_indirect_call, 0
	.section	.AMDGPU.csdata,"",@progbits
; Kernel info:
; codeLenInByte = 1036
; TotalNumSgprs: 36
; NumVgprs: 23
; ScratchSize: 0
; MemoryBound: 0
; FloatMode: 240
; IeeeMode: 1
; LDSByteSize: 0 bytes/workgroup (compile time only)
; SGPRBlocks: 4
; VGPRBlocks: 5
; NumSGPRsForWavesPerEU: 36
; NumVGPRsForWavesPerEU: 23
; Occupancy: 10
; WaveLimiterHint : 1
; COMPUTE_PGM_RSRC2:SCRATCH_EN: 0
; COMPUTE_PGM_RSRC2:USER_SGPR: 6
; COMPUTE_PGM_RSRC2:TRAP_HANDLER: 0
; COMPUTE_PGM_RSRC2:TGID_X_EN: 1
; COMPUTE_PGM_RSRC2:TGID_Y_EN: 0
; COMPUTE_PGM_RSRC2:TGID_Z_EN: 1
; COMPUTE_PGM_RSRC2:TIDIG_COMP_CNT: 0
	.section	.text._ZL18rocblas_her_kernelILi1024EPKfPKPK19rocblas_complex_numIfEPKPS3_EvbiT0_T1_lllT2_llli,"axG",@progbits,_ZL18rocblas_her_kernelILi1024EPKfPKPK19rocblas_complex_numIfEPKPS3_EvbiT0_T1_lllT2_llli,comdat
	.globl	_ZL18rocblas_her_kernelILi1024EPKfPKPK19rocblas_complex_numIfEPKPS3_EvbiT0_T1_lllT2_llli ; -- Begin function _ZL18rocblas_her_kernelILi1024EPKfPKPK19rocblas_complex_numIfEPKPS3_EvbiT0_T1_lllT2_llli
	.p2align	8
	.type	_ZL18rocblas_her_kernelILi1024EPKfPKPK19rocblas_complex_numIfEPKPS3_EvbiT0_T1_lllT2_llli,@function
_ZL18rocblas_her_kernelILi1024EPKfPKPK19rocblas_complex_numIfEPKPS3_EvbiT0_T1_lllT2_llli: ; @_ZL18rocblas_her_kernelILi1024EPKfPKPK19rocblas_complex_numIfEPKPS3_EvbiT0_T1_lllT2_llli
; %bb.0:
	s_load_dwordx8 s[8:15], s[4:5], 0x8
	s_mov_b32 s17, 0
	s_waitcnt lgkmcnt(0)
	s_load_dword s20, s[8:9], 0x0
	s_waitcnt lgkmcnt(0)
	v_cmp_eq_f32_e64 s[0:1], s20, 0
	s_and_b64 vcc, exec, s[0:1]
	s_cbranch_vccnz .LBB4_15
; %bb.1:
	s_load_dwordx2 s[8:9], s[4:5], 0x0
	s_load_dwordx4 s[0:3], s[4:5], 0x30
	s_load_dwordx2 s[18:19], s[4:5], 0x40
	s_mov_b32 s16, s7
	s_lshl_b64 s[4:5], s[16:17], 3
	s_waitcnt lgkmcnt(0)
	s_and_b32 s21, s8, 1
	s_add_u32 s0, s0, s4
	s_addc_u32 s1, s1, s5
	s_load_dwordx2 s[16:17], s[0:1], 0x0
	s_lshl_b64 s[18:19], s[18:19], 3
	s_mul_i32 s3, s3, s6
	s_mul_hi_u32 s23, s14, s6
	v_cmp_gt_i32_e32 vcc, s9, v0
	s_waitcnt lgkmcnt(0)
	s_add_u32 s24, s16, s18
	s_addc_u32 s25, s17, s19
	s_add_u32 s0, s10, s4
	s_addc_u32 s1, s11, s5
	s_load_dwordx2 s[4:5], s[0:1], 0x0
	s_lshl_b64 s[10:11], s[12:13], 3
	s_mul_hi_u32 s1, s2, s6
	s_mul_i32 s0, s2, s6
	s_waitcnt lgkmcnt(0)
	s_add_u32 s8, s4, s10
	s_addc_u32 s22, s5, s11
	s_ashr_i32 s7, s6, 31
	s_mul_i32 s2, s2, s7
	s_add_i32 s1, s1, s2
	s_mul_i32 s12, s14, s7
	s_add_i32 s1, s1, s3
	s_add_i32 s12, s23, s12
	s_lshl_b64 s[2:3], s[0:1], 3
	s_mul_i32 s0, s15, s6
	s_add_i32 s1, s12, s0
	s_mul_i32 s0, s14, s6
	s_lshl_b64 s[0:1], s[0:1], 3
	s_add_u32 s0, s8, s0
	s_addc_u32 s1, s22, s1
	v_mov_b32_e32 v2, s1
	v_mov_b32_e32 v1, s0
	flat_load_dwordx2 v[4:5], v[1:2]
	v_cndmask_b32_e32 v1, 0, v0, vcc
	v_lshlrev_b32_e32 v3, 3, v1
	v_mov_b32_e32 v1, s25
	v_add_co_u32_e32 v2, vcc, s24, v3
	v_addc_co_u32_e32 v6, vcc, 0, v1, vcc
	v_mov_b32_e32 v7, s3
	v_add_co_u32_e32 v1, vcc, s2, v2
	v_addc_co_u32_e32 v2, vcc, v6, v7, vcc
	s_cmp_eq_u32 s21, 0
	s_mov_b64 s[12:13], -1
	s_waitcnt vmcnt(0) lgkmcnt(0)
	v_mul_f32_e32 v9, 0, v5
	v_mul_f32_e32 v5, s20, v5
	v_fmac_f32_e32 v9, s20, v4
	v_fma_f32 v10, v4, 0, -v5
	s_cbranch_scc0 .LBB4_8
; %bb.2:
	v_cmp_eq_u32_e32 vcc, 0, v0
	s_and_saveexec_b64 s[12:13], vcc
	s_cbranch_execz .LBB4_4
; %bb.3:
	v_mov_b32_e32 v5, s1
	s_lshl_b64 s[20:21], s[6:7], 3
	v_mov_b32_e32 v4, s0
	v_mov_b32_e32 v7, s21
	flat_load_dwordx2 v[4:5], v[4:5]
	v_add_co_u32_e32 v6, vcc, s20, v1
	v_addc_co_u32_e32 v7, vcc, v2, v7, vcc
	flat_load_dword v8, v[6:7]
	s_waitcnt vmcnt(0) lgkmcnt(0)
	v_mul_f32_e32 v5, v10, v5
	v_fma_f32 v4, v9, v4, -v5
	v_mov_b32_e32 v5, 0
	v_add_f32_e32 v4, v8, v4
	flat_store_dwordx2 v[6:7], v[4:5]
.LBB4_4:
	s_or_b64 exec, exec, s[12:13]
	s_add_i32 s20, s6, 1
	v_add_u32_e32 v5, s20, v0
	v_cmp_gt_i32_e32 vcc, s9, v5
	s_and_saveexec_b64 s[12:13], vcc
	s_cbranch_execz .LBB4_7
; %bb.5:
	s_add_u32 s7, s2, s18
	s_addc_u32 s18, s3, s19
	s_ashr_i32 s21, s20, 31
	s_lshl_b64 s[2:3], s[20:21], 3
	s_add_u32 s2, s7, s2
	s_addc_u32 s3, s18, s3
	s_add_u32 s2, s16, s2
	s_addc_u32 s3, s17, s3
	v_mov_b32_e32 v4, s3
	v_add_co_u32_e32 v3, vcc, s2, v3
	v_addc_co_u32_e32 v4, vcc, 0, v4, vcc
	s_mov_b64 s[2:3], 0
	v_mov_b32_e32 v6, s22
.LBB4_6:                                ; =>This Inner Loop Header: Depth=1
	v_ashrrev_i32_e32 v11, 31, v5
	v_mul_lo_u32 v12, s15, v5
	v_mad_u64_u32 v[7:8], s[16:17], s14, v5, 0
	v_mul_lo_u32 v11, s14, v11
	v_add_u32_e32 v5, 0x400, v5
	v_add3_u32 v8, v8, v11, v12
	v_lshlrev_b64 v[7:8], 3, v[7:8]
	v_add_co_u32_e32 v7, vcc, s8, v7
	v_addc_co_u32_e32 v8, vcc, v6, v8, vcc
	flat_load_dwordx2 v[11:12], v[7:8]
	flat_load_dwordx2 v[13:14], v[3:4]
	v_cmp_le_i32_e32 vcc, s9, v5
	s_or_b64 s[2:3], vcc, s[2:3]
	s_waitcnt vmcnt(0) lgkmcnt(0)
	v_mul_f32_e32 v7, v10, v12
	v_mul_f32_e32 v8, v9, v12
	v_fma_f32 v7, v9, v11, -v7
	v_fmac_f32_e32 v8, v10, v11
	v_add_f32_e32 v7, v13, v7
	v_add_f32_e32 v8, v8, v14
	flat_store_dwordx2 v[3:4], v[7:8]
	v_add_co_u32_e32 v3, vcc, 0x2000, v3
	v_addc_co_u32_e32 v4, vcc, 0, v4, vcc
	s_andn2_b64 exec, exec, s[2:3]
	s_cbranch_execnz .LBB4_6
.LBB4_7:
	s_or_b64 exec, exec, s[12:13]
	s_mov_b64 s[12:13], 0
.LBB4_8:
	s_and_b64 vcc, exec, s[12:13]
	s_cbranch_vccz .LBB4_15
; %bb.9:
	v_mov_b32_e32 v7, 0
	v_cmp_gt_i32_e32 vcc, s6, v0
	v_mov_b32_e32 v8, 0
	v_mov_b32_e32 v11, v0
	s_and_saveexec_b64 s[2:3], vcc
	s_cbranch_execz .LBB4_13
; %bb.10:
	v_mad_u64_u32 v[3:4], s[8:9], s14, v0, 0
	s_add_u32 s4, s4, s10
	s_addc_u32 s5, s5, s11
	v_mad_u64_u32 v[4:5], s[8:9], s15, v0, v[4:5]
	v_mov_b32_e32 v5, s5
	s_mov_b32 s7, 0
	v_lshlrev_b64 v[3:4], 3, v[3:4]
	s_mov_b64 s[8:9], 0
	v_add_co_u32_e32 v3, vcc, s4, v3
	v_addc_co_u32_e32 v4, vcc, v5, v4, vcc
	s_lshl_b64 s[4:5], s[14:15], 13
	v_mov_b32_e32 v6, v2
	v_mov_b32_e32 v8, s5
	;; [unrolled: 1-line block ×3, first 2 shown]
.LBB4_11:                               ; =>This Inner Loop Header: Depth=1
	flat_load_dwordx2 v[12:13], v[3:4]
	flat_load_dwordx2 v[14:15], v[5:6]
	s_addk_i32 s7, 0x400
	v_add_co_u32_e32 v3, vcc, s4, v3
	v_addc_co_u32_e32 v4, vcc, v4, v8, vcc
	v_add_u32_e32 v11, s7, v0
	v_cmp_le_i32_e32 vcc, s6, v11
	s_or_b64 s[8:9], vcc, s[8:9]
	v_mov_b32_e32 v7, s7
	s_waitcnt vmcnt(0) lgkmcnt(0)
	v_mul_f32_e32 v16, v10, v13
	v_mul_f32_e32 v13, v9, v13
	v_fma_f32 v16, v9, v12, -v16
	v_fmac_f32_e32 v13, v10, v12
	v_add_f32_e32 v12, v14, v16
	v_add_f32_e32 v13, v13, v15
	flat_store_dwordx2 v[5:6], v[12:13]
	v_add_co_u32_e32 v5, vcc, 0x2000, v5
	v_addc_co_u32_e32 v6, vcc, 0, v6, vcc
	s_andn2_b64 exec, exec, s[8:9]
	s_cbranch_execnz .LBB4_11
; %bb.12:
	s_or_b64 exec, exec, s[8:9]
	v_mov_b32_e32 v8, 0
.LBB4_13:
	s_or_b64 exec, exec, s[2:3]
	v_cmp_eq_u32_e32 vcc, s6, v11
	s_and_saveexec_b64 s[2:3], vcc
	s_cbranch_execz .LBB4_15
; %bb.14:
	v_lshlrev_b64 v[3:4], 3, v[7:8]
	v_mov_b32_e32 v6, s1
	v_mov_b32_e32 v5, s0
	flat_load_dwordx2 v[5:6], v[5:6]
	v_add_co_u32_e32 v0, vcc, v1, v3
	v_addc_co_u32_e32 v1, vcc, v2, v4, vcc
	flat_load_dword v2, v[0:1]
	s_waitcnt vmcnt(0) lgkmcnt(0)
	v_mul_f32_e32 v3, v10, v6
	v_fma_f32 v3, v9, v5, -v3
	v_add_f32_e32 v2, v2, v3
	v_mov_b32_e32 v3, 0
	flat_store_dwordx2 v[0:1], v[2:3]
.LBB4_15:
	s_endpgm
	.section	.rodata,"a",@progbits
	.p2align	6, 0x0
	.amdhsa_kernel _ZL18rocblas_her_kernelILi1024EPKfPKPK19rocblas_complex_numIfEPKPS3_EvbiT0_T1_lllT2_llli
		.amdhsa_group_segment_fixed_size 0
		.amdhsa_private_segment_fixed_size 0
		.amdhsa_kernarg_size 84
		.amdhsa_user_sgpr_count 6
		.amdhsa_user_sgpr_private_segment_buffer 1
		.amdhsa_user_sgpr_dispatch_ptr 0
		.amdhsa_user_sgpr_queue_ptr 0
		.amdhsa_user_sgpr_kernarg_segment_ptr 1
		.amdhsa_user_sgpr_dispatch_id 0
		.amdhsa_user_sgpr_flat_scratch_init 0
		.amdhsa_user_sgpr_private_segment_size 0
		.amdhsa_uses_dynamic_stack 0
		.amdhsa_system_sgpr_private_segment_wavefront_offset 0
		.amdhsa_system_sgpr_workgroup_id_x 1
		.amdhsa_system_sgpr_workgroup_id_y 0
		.amdhsa_system_sgpr_workgroup_id_z 1
		.amdhsa_system_sgpr_workgroup_info 0
		.amdhsa_system_vgpr_workitem_id 0
		.amdhsa_next_free_vgpr 17
		.amdhsa_next_free_sgpr 26
		.amdhsa_reserve_vcc 1
		.amdhsa_reserve_flat_scratch 0
		.amdhsa_float_round_mode_32 0
		.amdhsa_float_round_mode_16_64 0
		.amdhsa_float_denorm_mode_32 3
		.amdhsa_float_denorm_mode_16_64 3
		.amdhsa_dx10_clamp 1
		.amdhsa_ieee_mode 1
		.amdhsa_fp16_overflow 0
		.amdhsa_exception_fp_ieee_invalid_op 0
		.amdhsa_exception_fp_denorm_src 0
		.amdhsa_exception_fp_ieee_div_zero 0
		.amdhsa_exception_fp_ieee_overflow 0
		.amdhsa_exception_fp_ieee_underflow 0
		.amdhsa_exception_fp_ieee_inexact 0
		.amdhsa_exception_int_div_zero 0
	.end_amdhsa_kernel
	.section	.text._ZL18rocblas_her_kernelILi1024EPKfPKPK19rocblas_complex_numIfEPKPS3_EvbiT0_T1_lllT2_llli,"axG",@progbits,_ZL18rocblas_her_kernelILi1024EPKfPKPK19rocblas_complex_numIfEPKPS3_EvbiT0_T1_lllT2_llli,comdat
.Lfunc_end4:
	.size	_ZL18rocblas_her_kernelILi1024EPKfPKPK19rocblas_complex_numIfEPKPS3_EvbiT0_T1_lllT2_llli, .Lfunc_end4-_ZL18rocblas_her_kernelILi1024EPKfPKPK19rocblas_complex_numIfEPKPS3_EvbiT0_T1_lllT2_llli
                                        ; -- End function
	.set _ZL18rocblas_her_kernelILi1024EPKfPKPK19rocblas_complex_numIfEPKPS3_EvbiT0_T1_lllT2_llli.num_vgpr, 17
	.set _ZL18rocblas_her_kernelILi1024EPKfPKPK19rocblas_complex_numIfEPKPS3_EvbiT0_T1_lllT2_llli.num_agpr, 0
	.set _ZL18rocblas_her_kernelILi1024EPKfPKPK19rocblas_complex_numIfEPKPS3_EvbiT0_T1_lllT2_llli.numbered_sgpr, 26
	.set _ZL18rocblas_her_kernelILi1024EPKfPKPK19rocblas_complex_numIfEPKPS3_EvbiT0_T1_lllT2_llli.num_named_barrier, 0
	.set _ZL18rocblas_her_kernelILi1024EPKfPKPK19rocblas_complex_numIfEPKPS3_EvbiT0_T1_lllT2_llli.private_seg_size, 0
	.set _ZL18rocblas_her_kernelILi1024EPKfPKPK19rocblas_complex_numIfEPKPS3_EvbiT0_T1_lllT2_llli.uses_vcc, 1
	.set _ZL18rocblas_her_kernelILi1024EPKfPKPK19rocblas_complex_numIfEPKPS3_EvbiT0_T1_lllT2_llli.uses_flat_scratch, 0
	.set _ZL18rocblas_her_kernelILi1024EPKfPKPK19rocblas_complex_numIfEPKPS3_EvbiT0_T1_lllT2_llli.has_dyn_sized_stack, 0
	.set _ZL18rocblas_her_kernelILi1024EPKfPKPK19rocblas_complex_numIfEPKPS3_EvbiT0_T1_lllT2_llli.has_recursion, 0
	.set _ZL18rocblas_her_kernelILi1024EPKfPKPK19rocblas_complex_numIfEPKPS3_EvbiT0_T1_lllT2_llli.has_indirect_call, 0
	.section	.AMDGPU.csdata,"",@progbits
; Kernel info:
; codeLenInByte = 920
; TotalNumSgprs: 30
; NumVgprs: 17
; ScratchSize: 0
; MemoryBound: 0
; FloatMode: 240
; IeeeMode: 1
; LDSByteSize: 0 bytes/workgroup (compile time only)
; SGPRBlocks: 3
; VGPRBlocks: 4
; NumSGPRsForWavesPerEU: 30
; NumVGPRsForWavesPerEU: 17
; Occupancy: 10
; WaveLimiterHint : 1
; COMPUTE_PGM_RSRC2:SCRATCH_EN: 0
; COMPUTE_PGM_RSRC2:USER_SGPR: 6
; COMPUTE_PGM_RSRC2:TRAP_HANDLER: 0
; COMPUTE_PGM_RSRC2:TGID_X_EN: 1
; COMPUTE_PGM_RSRC2:TGID_Y_EN: 0
; COMPUTE_PGM_RSRC2:TGID_Z_EN: 1
; COMPUTE_PGM_RSRC2:TIDIG_COMP_CNT: 0
	.section	.text._ZL18rocblas_her_kernelILi1024EfPKPK19rocblas_complex_numIfEPKPS1_EvbiT0_T1_lllT2_llli,"axG",@progbits,_ZL18rocblas_her_kernelILi1024EfPKPK19rocblas_complex_numIfEPKPS1_EvbiT0_T1_lllT2_llli,comdat
	.globl	_ZL18rocblas_her_kernelILi1024EfPKPK19rocblas_complex_numIfEPKPS1_EvbiT0_T1_lllT2_llli ; -- Begin function _ZL18rocblas_her_kernelILi1024EfPKPK19rocblas_complex_numIfEPKPS1_EvbiT0_T1_lllT2_llli
	.p2align	8
	.type	_ZL18rocblas_her_kernelILi1024EfPKPK19rocblas_complex_numIfEPKPS1_EvbiT0_T1_lllT2_llli,@function
_ZL18rocblas_her_kernelILi1024EfPKPK19rocblas_complex_numIfEPKPS1_EvbiT0_T1_lllT2_llli: ; @_ZL18rocblas_her_kernelILi1024EfPKPK19rocblas_complex_numIfEPKPS1_EvbiT0_T1_lllT2_llli
; %bb.0:
	s_load_dwordx4 s[0:3], s[4:5], 0x0
	s_mov_b32 s13, 0
	s_waitcnt lgkmcnt(0)
	v_cmp_eq_f32_e64 s[8:9], s2, 0
	s_and_b64 vcc, exec, s[8:9]
	s_cbranch_vccnz .LBB5_15
; %bb.1:
	s_load_dwordx4 s[8:11], s[4:5], 0x30
	s_load_dwordx2 s[18:19], s[4:5], 0x40
	s_mov_b32 s12, s7
	s_and_b32 s3, s0, 1
	s_lshl_b64 s[20:21], s[12:13], 3
	s_waitcnt lgkmcnt(0)
	s_add_u32 s22, s8, s20
	s_addc_u32 s23, s9, s21
	s_load_dwordx2 s[16:17], s[22:23], 0x0
	s_load_dwordx4 s[12:15], s[4:5], 0x10
	s_load_dwordx2 s[8:9], s[4:5], 0x20
	s_lshl_b64 s[18:19], s[18:19], 3
	s_mul_hi_u32 s23, s10, s6
	s_waitcnt lgkmcnt(0)
	s_add_u32 s24, s16, s18
	s_addc_u32 s25, s17, s19
	s_add_u32 s4, s12, s20
	s_addc_u32 s5, s13, s21
	s_load_dwordx2 s[12:13], s[4:5], 0x0
	s_lshl_b64 s[14:15], s[14:15], 3
	s_mul_i32 s4, s10, s6
	s_mul_i32 s5, s11, s6
	s_mul_hi_u32 s20, s8, s6
	s_waitcnt lgkmcnt(0)
	s_add_u32 s0, s12, s14
	s_addc_u32 s22, s13, s15
	s_ashr_i32 s7, s6, 31
	s_mul_i32 s10, s10, s7
	s_add_i32 s10, s23, s10
	s_add_i32 s5, s10, s5
	s_lshl_b64 s[10:11], s[4:5], 3
	s_mul_i32 s4, s8, s7
	s_add_i32 s4, s20, s4
	s_mul_i32 s5, s9, s6
	s_add_i32 s5, s4, s5
	s_mul_i32 s4, s8, s6
	s_lshl_b64 s[4:5], s[4:5], 3
	s_add_u32 s4, s0, s4
	s_addc_u32 s5, s22, s5
	v_mov_b32_e32 v1, s4
	v_mov_b32_e32 v2, s5
	flat_load_dwordx2 v[4:5], v[1:2]
	v_cmp_gt_i32_e32 vcc, s1, v0
	v_cndmask_b32_e32 v1, 0, v0, vcc
	v_lshlrev_b32_e32 v3, 3, v1
	v_mov_b32_e32 v1, s25
	v_add_co_u32_e32 v2, vcc, s24, v3
	v_addc_co_u32_e32 v6, vcc, 0, v1, vcc
	v_mov_b32_e32 v7, s11
	v_add_co_u32_e32 v1, vcc, s10, v2
	v_addc_co_u32_e32 v2, vcc, v6, v7, vcc
	s_cmp_eq_u32 s3, 0
	s_waitcnt vmcnt(0) lgkmcnt(0)
	v_mul_f32_e32 v9, 0, v5
	v_mul_f32_e32 v5, s2, v5
	v_fmac_f32_e32 v9, s2, v4
	v_fma_f32 v10, v4, 0, -v5
	s_mov_b64 s[2:3], -1
	s_cbranch_scc0 .LBB5_8
; %bb.2:
	v_cmp_eq_u32_e32 vcc, 0, v0
	s_and_saveexec_b64 s[2:3], vcc
	s_cbranch_execz .LBB5_4
; %bb.3:
	v_mov_b32_e32 v4, s4
	s_lshl_b64 s[20:21], s[6:7], 3
	v_mov_b32_e32 v5, s5
	v_mov_b32_e32 v7, s21
	flat_load_dwordx2 v[4:5], v[4:5]
	v_add_co_u32_e32 v6, vcc, s20, v1
	v_addc_co_u32_e32 v7, vcc, v2, v7, vcc
	flat_load_dword v8, v[6:7]
	s_waitcnt vmcnt(0) lgkmcnt(0)
	v_mul_f32_e32 v5, v10, v5
	v_fma_f32 v4, v9, v4, -v5
	v_mov_b32_e32 v5, 0
	v_add_f32_e32 v4, v8, v4
	flat_store_dwordx2 v[6:7], v[4:5]
.LBB5_4:
	s_or_b64 exec, exec, s[2:3]
	s_add_i32 s20, s6, 1
	v_add_u32_e32 v5, s20, v0
	v_cmp_gt_i32_e32 vcc, s1, v5
	s_and_saveexec_b64 s[2:3], vcc
	s_cbranch_execz .LBB5_7
; %bb.5:
	s_add_u32 s7, s10, s18
	s_addc_u32 s18, s11, s19
	s_ashr_i32 s21, s20, 31
	s_lshl_b64 s[10:11], s[20:21], 3
	s_add_u32 s7, s7, s10
	s_addc_u32 s10, s18, s11
	s_add_u32 s7, s16, s7
	s_addc_u32 s10, s17, s10
	v_mov_b32_e32 v4, s10
	v_add_co_u32_e32 v3, vcc, s7, v3
	v_addc_co_u32_e32 v4, vcc, 0, v4, vcc
	s_mov_b64 s[10:11], 0
	v_mov_b32_e32 v6, s22
.LBB5_6:                                ; =>This Inner Loop Header: Depth=1
	v_ashrrev_i32_e32 v11, 31, v5
	v_mul_lo_u32 v12, s9, v5
	v_mad_u64_u32 v[7:8], s[16:17], s8, v5, 0
	v_mul_lo_u32 v11, s8, v11
	v_add_u32_e32 v5, 0x400, v5
	v_add3_u32 v8, v8, v11, v12
	v_lshlrev_b64 v[7:8], 3, v[7:8]
	v_add_co_u32_e32 v7, vcc, s0, v7
	v_addc_co_u32_e32 v8, vcc, v6, v8, vcc
	flat_load_dwordx2 v[11:12], v[7:8]
	flat_load_dwordx2 v[13:14], v[3:4]
	v_cmp_le_i32_e32 vcc, s1, v5
	s_or_b64 s[10:11], vcc, s[10:11]
	s_waitcnt vmcnt(0) lgkmcnt(0)
	v_mul_f32_e32 v7, v10, v12
	v_mul_f32_e32 v8, v9, v12
	v_fma_f32 v7, v9, v11, -v7
	v_fmac_f32_e32 v8, v10, v11
	v_add_f32_e32 v7, v13, v7
	v_add_f32_e32 v8, v8, v14
	flat_store_dwordx2 v[3:4], v[7:8]
	v_add_co_u32_e32 v3, vcc, 0x2000, v3
	v_addc_co_u32_e32 v4, vcc, 0, v4, vcc
	s_andn2_b64 exec, exec, s[10:11]
	s_cbranch_execnz .LBB5_6
.LBB5_7:
	s_or_b64 exec, exec, s[2:3]
	s_mov_b64 s[2:3], 0
.LBB5_8:
	s_and_b64 vcc, exec, s[2:3]
	s_cbranch_vccz .LBB5_15
; %bb.9:
	v_mov_b32_e32 v7, 0
	v_cmp_gt_i32_e32 vcc, s6, v0
	v_mov_b32_e32 v8, 0
	v_mov_b32_e32 v11, v0
	s_and_saveexec_b64 s[0:1], vcc
	s_cbranch_execz .LBB5_13
; %bb.10:
	v_mad_u64_u32 v[3:4], s[2:3], s8, v0, 0
	s_mov_b32 s7, 0
	v_mad_u64_u32 v[4:5], s[2:3], s9, v0, v[4:5]
	s_add_u32 s2, s12, s14
	s_addc_u32 s3, s13, s15
	v_lshlrev_b64 v[3:4], 3, v[3:4]
	v_mov_b32_e32 v5, s3
	v_add_co_u32_e32 v3, vcc, s2, v3
	v_addc_co_u32_e32 v4, vcc, v5, v4, vcc
	s_lshl_b64 s[2:3], s[8:9], 13
	v_mov_b32_e32 v6, v2
	s_mov_b64 s[8:9], 0
	v_mov_b32_e32 v8, s3
	v_mov_b32_e32 v5, v1
.LBB5_11:                               ; =>This Inner Loop Header: Depth=1
	flat_load_dwordx2 v[12:13], v[3:4]
	flat_load_dwordx2 v[14:15], v[5:6]
	s_addk_i32 s7, 0x400
	v_add_co_u32_e32 v3, vcc, s2, v3
	v_addc_co_u32_e32 v4, vcc, v4, v8, vcc
	v_add_u32_e32 v11, s7, v0
	v_cmp_le_i32_e32 vcc, s6, v11
	s_or_b64 s[8:9], vcc, s[8:9]
	v_mov_b32_e32 v7, s7
	s_waitcnt vmcnt(0) lgkmcnt(0)
	v_mul_f32_e32 v16, v10, v13
	v_mul_f32_e32 v13, v9, v13
	v_fma_f32 v16, v9, v12, -v16
	v_fmac_f32_e32 v13, v10, v12
	v_add_f32_e32 v12, v14, v16
	v_add_f32_e32 v13, v13, v15
	flat_store_dwordx2 v[5:6], v[12:13]
	v_add_co_u32_e32 v5, vcc, 0x2000, v5
	v_addc_co_u32_e32 v6, vcc, 0, v6, vcc
	s_andn2_b64 exec, exec, s[8:9]
	s_cbranch_execnz .LBB5_11
; %bb.12:
	s_or_b64 exec, exec, s[8:9]
	v_mov_b32_e32 v8, 0
.LBB5_13:
	s_or_b64 exec, exec, s[0:1]
	v_cmp_eq_u32_e32 vcc, s6, v11
	s_and_saveexec_b64 s[0:1], vcc
	s_cbranch_execz .LBB5_15
; %bb.14:
	v_lshlrev_b64 v[3:4], 3, v[7:8]
	v_mov_b32_e32 v6, s5
	v_mov_b32_e32 v5, s4
	flat_load_dwordx2 v[5:6], v[5:6]
	v_add_co_u32_e32 v0, vcc, v1, v3
	v_addc_co_u32_e32 v1, vcc, v2, v4, vcc
	flat_load_dword v2, v[0:1]
	s_waitcnt vmcnt(0) lgkmcnt(0)
	v_mul_f32_e32 v3, v10, v6
	v_fma_f32 v3, v9, v5, -v3
	v_add_f32_e32 v2, v2, v3
	v_mov_b32_e32 v3, 0
	flat_store_dwordx2 v[0:1], v[2:3]
.LBB5_15:
	s_endpgm
	.section	.rodata,"a",@progbits
	.p2align	6, 0x0
	.amdhsa_kernel _ZL18rocblas_her_kernelILi1024EfPKPK19rocblas_complex_numIfEPKPS1_EvbiT0_T1_lllT2_llli
		.amdhsa_group_segment_fixed_size 0
		.amdhsa_private_segment_fixed_size 0
		.amdhsa_kernarg_size 84
		.amdhsa_user_sgpr_count 6
		.amdhsa_user_sgpr_private_segment_buffer 1
		.amdhsa_user_sgpr_dispatch_ptr 0
		.amdhsa_user_sgpr_queue_ptr 0
		.amdhsa_user_sgpr_kernarg_segment_ptr 1
		.amdhsa_user_sgpr_dispatch_id 0
		.amdhsa_user_sgpr_flat_scratch_init 0
		.amdhsa_user_sgpr_private_segment_size 0
		.amdhsa_uses_dynamic_stack 0
		.amdhsa_system_sgpr_private_segment_wavefront_offset 0
		.amdhsa_system_sgpr_workgroup_id_x 1
		.amdhsa_system_sgpr_workgroup_id_y 0
		.amdhsa_system_sgpr_workgroup_id_z 1
		.amdhsa_system_sgpr_workgroup_info 0
		.amdhsa_system_vgpr_workitem_id 0
		.amdhsa_next_free_vgpr 17
		.amdhsa_next_free_sgpr 26
		.amdhsa_reserve_vcc 1
		.amdhsa_reserve_flat_scratch 0
		.amdhsa_float_round_mode_32 0
		.amdhsa_float_round_mode_16_64 0
		.amdhsa_float_denorm_mode_32 3
		.amdhsa_float_denorm_mode_16_64 3
		.amdhsa_dx10_clamp 1
		.amdhsa_ieee_mode 1
		.amdhsa_fp16_overflow 0
		.amdhsa_exception_fp_ieee_invalid_op 0
		.amdhsa_exception_fp_denorm_src 0
		.amdhsa_exception_fp_ieee_div_zero 0
		.amdhsa_exception_fp_ieee_overflow 0
		.amdhsa_exception_fp_ieee_underflow 0
		.amdhsa_exception_fp_ieee_inexact 0
		.amdhsa_exception_int_div_zero 0
	.end_amdhsa_kernel
	.section	.text._ZL18rocblas_her_kernelILi1024EfPKPK19rocblas_complex_numIfEPKPS1_EvbiT0_T1_lllT2_llli,"axG",@progbits,_ZL18rocblas_her_kernelILi1024EfPKPK19rocblas_complex_numIfEPKPS1_EvbiT0_T1_lllT2_llli,comdat
.Lfunc_end5:
	.size	_ZL18rocblas_her_kernelILi1024EfPKPK19rocblas_complex_numIfEPKPS1_EvbiT0_T1_lllT2_llli, .Lfunc_end5-_ZL18rocblas_her_kernelILi1024EfPKPK19rocblas_complex_numIfEPKPS1_EvbiT0_T1_lllT2_llli
                                        ; -- End function
	.set _ZL18rocblas_her_kernelILi1024EfPKPK19rocblas_complex_numIfEPKPS1_EvbiT0_T1_lllT2_llli.num_vgpr, 17
	.set _ZL18rocblas_her_kernelILi1024EfPKPK19rocblas_complex_numIfEPKPS1_EvbiT0_T1_lllT2_llli.num_agpr, 0
	.set _ZL18rocblas_her_kernelILi1024EfPKPK19rocblas_complex_numIfEPKPS1_EvbiT0_T1_lllT2_llli.numbered_sgpr, 26
	.set _ZL18rocblas_her_kernelILi1024EfPKPK19rocblas_complex_numIfEPKPS1_EvbiT0_T1_lllT2_llli.num_named_barrier, 0
	.set _ZL18rocblas_her_kernelILi1024EfPKPK19rocblas_complex_numIfEPKPS1_EvbiT0_T1_lllT2_llli.private_seg_size, 0
	.set _ZL18rocblas_her_kernelILi1024EfPKPK19rocblas_complex_numIfEPKPS1_EvbiT0_T1_lllT2_llli.uses_vcc, 1
	.set _ZL18rocblas_her_kernelILi1024EfPKPK19rocblas_complex_numIfEPKPS1_EvbiT0_T1_lllT2_llli.uses_flat_scratch, 0
	.set _ZL18rocblas_her_kernelILi1024EfPKPK19rocblas_complex_numIfEPKPS1_EvbiT0_T1_lllT2_llli.has_dyn_sized_stack, 0
	.set _ZL18rocblas_her_kernelILi1024EfPKPK19rocblas_complex_numIfEPKPS1_EvbiT0_T1_lllT2_llli.has_recursion, 0
	.set _ZL18rocblas_her_kernelILi1024EfPKPK19rocblas_complex_numIfEPKPS1_EvbiT0_T1_lllT2_llli.has_indirect_call, 0
	.section	.AMDGPU.csdata,"",@progbits
; Kernel info:
; codeLenInByte = 916
; TotalNumSgprs: 30
; NumVgprs: 17
; ScratchSize: 0
; MemoryBound: 0
; FloatMode: 240
; IeeeMode: 1
; LDSByteSize: 0 bytes/workgroup (compile time only)
; SGPRBlocks: 3
; VGPRBlocks: 4
; NumSGPRsForWavesPerEU: 30
; NumVGPRsForWavesPerEU: 17
; Occupancy: 10
; WaveLimiterHint : 1
; COMPUTE_PGM_RSRC2:SCRATCH_EN: 0
; COMPUTE_PGM_RSRC2:USER_SGPR: 6
; COMPUTE_PGM_RSRC2:TRAP_HANDLER: 0
; COMPUTE_PGM_RSRC2:TGID_X_EN: 1
; COMPUTE_PGM_RSRC2:TGID_Y_EN: 0
; COMPUTE_PGM_RSRC2:TGID_Z_EN: 1
; COMPUTE_PGM_RSRC2:TIDIG_COMP_CNT: 0
	.section	.text._ZL18rocblas_her_kernelILi1024EPKdPKPK19rocblas_complex_numIdEPKPS3_EvbiT0_T1_lllT2_llli,"axG",@progbits,_ZL18rocblas_her_kernelILi1024EPKdPKPK19rocblas_complex_numIdEPKPS3_EvbiT0_T1_lllT2_llli,comdat
	.globl	_ZL18rocblas_her_kernelILi1024EPKdPKPK19rocblas_complex_numIdEPKPS3_EvbiT0_T1_lllT2_llli ; -- Begin function _ZL18rocblas_her_kernelILi1024EPKdPKPK19rocblas_complex_numIdEPKPS3_EvbiT0_T1_lllT2_llli
	.p2align	8
	.type	_ZL18rocblas_her_kernelILi1024EPKdPKPK19rocblas_complex_numIdEPKPS3_EvbiT0_T1_lllT2_llli,@function
_ZL18rocblas_her_kernelILi1024EPKdPKPK19rocblas_complex_numIdEPKPS3_EvbiT0_T1_lllT2_llli: ; @_ZL18rocblas_her_kernelILi1024EPKdPKPK19rocblas_complex_numIdEPKPS3_EvbiT0_T1_lllT2_llli
; %bb.0:
	s_load_dwordx8 s[8:15], s[4:5], 0x8
	s_waitcnt lgkmcnt(0)
	s_load_dwordx2 s[20:21], s[8:9], 0x0
	s_waitcnt lgkmcnt(0)
	v_cmp_eq_f64_e64 s[0:1], s[20:21], 0
	s_and_b64 vcc, exec, s[0:1]
	s_cbranch_vccnz .LBB6_15
; %bb.1:
	s_load_dwordx2 s[8:9], s[4:5], 0x0
	s_load_dwordx4 s[0:3], s[4:5], 0x30
	s_load_dwordx2 s[18:19], s[4:5], 0x40
	s_mov_b32 s16, s7
	s_mov_b32 s17, 0
	s_lshl_b64 s[4:5], s[16:17], 3
	s_waitcnt lgkmcnt(0)
	s_and_b32 s23, s8, 1
	s_add_u32 s0, s0, s4
	s_addc_u32 s1, s1, s5
	s_load_dwordx2 s[16:17], s[0:1], 0x0
	s_lshl_b64 s[18:19], s[18:19], 4
	s_mul_hi_u32 s24, s14, s6
	s_mul_i32 s3, s3, s6
	v_cmp_gt_i32_e32 vcc, s9, v0
	s_waitcnt lgkmcnt(0)
	s_add_u32 s25, s16, s18
	s_addc_u32 s26, s17, s19
	s_add_u32 s0, s10, s4
	s_addc_u32 s1, s11, s5
	s_load_dwordx2 s[0:1], s[0:1], 0x0
	s_lshl_b64 s[4:5], s[12:13], 4
	s_mul_hi_u32 s11, s2, s6
	s_mul_i32 s10, s2, s6
	v_cndmask_b32_e32 v9, 0, v0, vcc
	s_waitcnt lgkmcnt(0)
	s_add_u32 s8, s0, s4
	s_addc_u32 s22, s1, s5
	s_ashr_i32 s7, s6, 31
	s_mul_i32 s2, s2, s7
	s_mul_i32 s12, s14, s7
	s_add_i32 s2, s11, s2
	s_add_i32 s11, s2, s3
	;; [unrolled: 1-line block ×3, first 2 shown]
	s_mul_i32 s3, s15, s6
	s_add_i32 s3, s2, s3
	s_mul_i32 s2, s14, s6
	s_lshl_b64 s[10:11], s[10:11], 4
	s_lshl_b64 s[2:3], s[2:3], 4
	s_add_u32 s2, s8, s2
	s_addc_u32 s3, s22, s3
	v_mov_b32_e32 v1, s2
	v_mov_b32_e32 v2, s3
	flat_load_dwordx4 v[1:4], v[1:2]
	v_lshlrev_b32_e32 v11, 4, v9
	v_mov_b32_e32 v9, s26
	v_add_co_u32_e32 v10, vcc, s25, v11
	v_addc_co_u32_e32 v12, vcc, 0, v9, vcc
	v_mov_b32_e32 v13, s11
	v_add_co_u32_e32 v9, vcc, s10, v10
	s_cmp_eq_u32 s23, 0
	v_addc_co_u32_e32 v10, vcc, v12, v13, vcc
	s_mov_b64 s[2:3], -1
	s_waitcnt vmcnt(0) lgkmcnt(0)
	v_mul_f64 v[5:6], v[3:4], 0
	v_mul_f64 v[7:8], s[20:21], v[3:4]
	v_fma_f64 v[5:6], s[20:21], v[1:2], v[5:6]
	v_fma_f64 v[7:8], v[1:2], 0, -v[7:8]
	s_cbranch_scc0 .LBB6_8
; %bb.2:
	v_cmp_eq_u32_e32 vcc, 0, v0
	s_and_saveexec_b64 s[2:3], vcc
	s_cbranch_execz .LBB6_4
; %bb.3:
	s_lshl_b64 s[12:13], s[6:7], 4
	v_mov_b32_e32 v12, s13
	v_add_co_u32_e32 v16, vcc, s12, v9
	v_addc_co_u32_e32 v17, vcc, v10, v12, vcc
	flat_load_dwordx2 v[12:13], v[16:17]
	v_mul_f64 v[14:15], v[3:4], v[7:8]
	v_fma_f64 v[14:15], v[1:2], v[5:6], -v[14:15]
	s_waitcnt vmcnt(0) lgkmcnt(0)
	v_add_f64 v[12:13], v[14:15], v[12:13]
	v_mov_b32_e32 v14, 0
	v_mov_b32_e32 v15, v14
	flat_store_dwordx4 v[16:17], v[12:15]
.LBB6_4:
	s_or_b64 exec, exec, s[2:3]
	s_add_i32 s12, s6, 1
	v_add_u32_e32 v13, s12, v0
	v_cmp_gt_i32_e32 vcc, s9, v13
	s_and_saveexec_b64 s[2:3], vcc
	s_cbranch_execz .LBB6_7
; %bb.5:
	s_add_u32 s7, s10, s18
	s_addc_u32 s18, s11, s19
	s_ashr_i32 s13, s12, 31
	s_lshl_b64 s[10:11], s[12:13], 4
	s_add_u32 s7, s7, s10
	s_addc_u32 s10, s18, s11
	s_add_u32 s7, s16, s7
	s_addc_u32 s10, s17, s10
	v_mov_b32_e32 v12, s10
	v_add_co_u32_e32 v11, vcc, s7, v11
	v_addc_co_u32_e32 v12, vcc, 0, v12, vcc
	s_mov_b64 s[10:11], 0
	v_mov_b32_e32 v14, s22
.LBB6_6:                                ; =>This Inner Loop Header: Depth=1
	v_ashrrev_i32_e32 v17, 31, v13
	v_mul_lo_u32 v18, s15, v13
	v_mad_u64_u32 v[15:16], s[12:13], s14, v13, 0
	v_mul_lo_u32 v17, s14, v17
	v_add_u32_e32 v13, 0x400, v13
	v_add3_u32 v16, v16, v17, v18
	v_lshlrev_b64 v[15:16], 4, v[15:16]
	v_add_co_u32_e32 v23, vcc, s8, v15
	v_addc_co_u32_e32 v24, vcc, v14, v16, vcc
	flat_load_dwordx4 v[15:18], v[23:24]
	flat_load_dwordx4 v[19:22], v[11:12]
	v_cmp_le_i32_e32 vcc, s9, v13
	s_or_b64 s[10:11], vcc, s[10:11]
	s_waitcnt vmcnt(0) lgkmcnt(0)
	v_mul_f64 v[23:24], v[7:8], v[17:18]
	v_mul_f64 v[17:18], v[5:6], v[17:18]
	v_fma_f64 v[23:24], v[5:6], v[15:16], -v[23:24]
	v_fma_f64 v[17:18], v[7:8], v[15:16], v[17:18]
	v_add_f64 v[15:16], v[19:20], v[23:24]
	v_add_f64 v[17:18], v[17:18], v[21:22]
	flat_store_dwordx4 v[11:12], v[15:18]
	v_add_co_u32_e32 v11, vcc, 0x4000, v11
	v_addc_co_u32_e32 v12, vcc, 0, v12, vcc
	s_andn2_b64 exec, exec, s[10:11]
	s_cbranch_execnz .LBB6_6
.LBB6_7:
	s_or_b64 exec, exec, s[2:3]
	s_mov_b64 s[2:3], 0
.LBB6_8:
	s_and_b64 vcc, exec, s[2:3]
	s_cbranch_vccz .LBB6_15
; %bb.9:
	v_mov_b32_e32 v15, 0
	v_cmp_gt_i32_e32 vcc, s6, v0
	v_mov_b32_e32 v16, 0
	v_mov_b32_e32 v17, v0
	s_and_saveexec_b64 s[2:3], vcc
	s_cbranch_execz .LBB6_13
; %bb.10:
	v_mad_u64_u32 v[11:12], s[8:9], s14, v0, 0
	s_add_u32 s0, s0, s4
	s_addc_u32 s1, s1, s5
	v_mad_u64_u32 v[12:13], s[8:9], s15, v0, v[12:13]
	v_mov_b32_e32 v13, s1
	s_mov_b32 s7, 0
	v_lshlrev_b64 v[11:12], 4, v[11:12]
	s_mov_b64 s[4:5], 0
	v_add_co_u32_e32 v11, vcc, s0, v11
	v_addc_co_u32_e32 v12, vcc, v13, v12, vcc
	s_lshl_b64 s[0:1], s[14:15], 14
	v_mov_b32_e32 v14, v10
	v_mov_b32_e32 v16, s1
	v_mov_b32_e32 v13, v9
.LBB6_11:                               ; =>This Inner Loop Header: Depth=1
	flat_load_dwordx4 v[17:20], v[11:12]
	flat_load_dwordx4 v[21:24], v[13:14]
	s_addk_i32 s7, 0x400
	v_add_co_u32_e32 v11, vcc, s0, v11
	v_addc_co_u32_e32 v12, vcc, v12, v16, vcc
	v_mov_b32_e32 v15, s7
	s_waitcnt vmcnt(0) lgkmcnt(0)
	v_mul_f64 v[25:26], v[7:8], v[19:20]
	v_mul_f64 v[19:20], v[5:6], v[19:20]
	v_fma_f64 v[25:26], v[5:6], v[17:18], -v[25:26]
	v_fma_f64 v[27:28], v[7:8], v[17:18], v[19:20]
	v_add_u32_e32 v17, s7, v0
	v_cmp_le_i32_e32 vcc, s6, v17
	s_or_b64 s[4:5], vcc, s[4:5]
	v_add_f64 v[18:19], v[21:22], v[25:26]
	v_add_f64 v[20:21], v[27:28], v[23:24]
	flat_store_dwordx4 v[13:14], v[18:21]
	v_add_co_u32_e32 v13, vcc, 0x4000, v13
	v_addc_co_u32_e32 v14, vcc, 0, v14, vcc
	s_andn2_b64 exec, exec, s[4:5]
	s_cbranch_execnz .LBB6_11
; %bb.12:
	s_or_b64 exec, exec, s[4:5]
	v_mov_b32_e32 v16, 0
.LBB6_13:
	s_or_b64 exec, exec, s[2:3]
	v_cmp_eq_u32_e32 vcc, s6, v17
	s_and_saveexec_b64 s[0:1], vcc
	s_cbranch_execz .LBB6_15
; %bb.14:
	v_lshlrev_b64 v[11:12], 4, v[15:16]
	v_mul_f64 v[3:4], v[3:4], v[7:8]
	v_add_co_u32_e32 v9, vcc, v9, v11
	v_addc_co_u32_e32 v10, vcc, v10, v12, vcc
	flat_load_dwordx2 v[11:12], v[9:10]
	v_fma_f64 v[0:1], v[1:2], v[5:6], -v[3:4]
	v_mov_b32_e32 v2, 0
	v_mov_b32_e32 v3, v2
	s_waitcnt vmcnt(0) lgkmcnt(0)
	v_add_f64 v[0:1], v[0:1], v[11:12]
	flat_store_dwordx4 v[9:10], v[0:3]
.LBB6_15:
	s_endpgm
	.section	.rodata,"a",@progbits
	.p2align	6, 0x0
	.amdhsa_kernel _ZL18rocblas_her_kernelILi1024EPKdPKPK19rocblas_complex_numIdEPKPS3_EvbiT0_T1_lllT2_llli
		.amdhsa_group_segment_fixed_size 0
		.amdhsa_private_segment_fixed_size 0
		.amdhsa_kernarg_size 84
		.amdhsa_user_sgpr_count 6
		.amdhsa_user_sgpr_private_segment_buffer 1
		.amdhsa_user_sgpr_dispatch_ptr 0
		.amdhsa_user_sgpr_queue_ptr 0
		.amdhsa_user_sgpr_kernarg_segment_ptr 1
		.amdhsa_user_sgpr_dispatch_id 0
		.amdhsa_user_sgpr_flat_scratch_init 0
		.amdhsa_user_sgpr_private_segment_size 0
		.amdhsa_uses_dynamic_stack 0
		.amdhsa_system_sgpr_private_segment_wavefront_offset 0
		.amdhsa_system_sgpr_workgroup_id_x 1
		.amdhsa_system_sgpr_workgroup_id_y 0
		.amdhsa_system_sgpr_workgroup_id_z 1
		.amdhsa_system_sgpr_workgroup_info 0
		.amdhsa_system_vgpr_workitem_id 0
		.amdhsa_next_free_vgpr 29
		.amdhsa_next_free_sgpr 27
		.amdhsa_reserve_vcc 1
		.amdhsa_reserve_flat_scratch 0
		.amdhsa_float_round_mode_32 0
		.amdhsa_float_round_mode_16_64 0
		.amdhsa_float_denorm_mode_32 3
		.amdhsa_float_denorm_mode_16_64 3
		.amdhsa_dx10_clamp 1
		.amdhsa_ieee_mode 1
		.amdhsa_fp16_overflow 0
		.amdhsa_exception_fp_ieee_invalid_op 0
		.amdhsa_exception_fp_denorm_src 0
		.amdhsa_exception_fp_ieee_div_zero 0
		.amdhsa_exception_fp_ieee_overflow 0
		.amdhsa_exception_fp_ieee_underflow 0
		.amdhsa_exception_fp_ieee_inexact 0
		.amdhsa_exception_int_div_zero 0
	.end_amdhsa_kernel
	.section	.text._ZL18rocblas_her_kernelILi1024EPKdPKPK19rocblas_complex_numIdEPKPS3_EvbiT0_T1_lllT2_llli,"axG",@progbits,_ZL18rocblas_her_kernelILi1024EPKdPKPK19rocblas_complex_numIdEPKPS3_EvbiT0_T1_lllT2_llli,comdat
.Lfunc_end6:
	.size	_ZL18rocblas_her_kernelILi1024EPKdPKPK19rocblas_complex_numIdEPKPS3_EvbiT0_T1_lllT2_llli, .Lfunc_end6-_ZL18rocblas_her_kernelILi1024EPKdPKPK19rocblas_complex_numIdEPKPS3_EvbiT0_T1_lllT2_llli
                                        ; -- End function
	.set _ZL18rocblas_her_kernelILi1024EPKdPKPK19rocblas_complex_numIdEPKPS3_EvbiT0_T1_lllT2_llli.num_vgpr, 29
	.set _ZL18rocblas_her_kernelILi1024EPKdPKPK19rocblas_complex_numIdEPKPS3_EvbiT0_T1_lllT2_llli.num_agpr, 0
	.set _ZL18rocblas_her_kernelILi1024EPKdPKPK19rocblas_complex_numIdEPKPS3_EvbiT0_T1_lllT2_llli.numbered_sgpr, 27
	.set _ZL18rocblas_her_kernelILi1024EPKdPKPK19rocblas_complex_numIdEPKPS3_EvbiT0_T1_lllT2_llli.num_named_barrier, 0
	.set _ZL18rocblas_her_kernelILi1024EPKdPKPK19rocblas_complex_numIdEPKPS3_EvbiT0_T1_lllT2_llli.private_seg_size, 0
	.set _ZL18rocblas_her_kernelILi1024EPKdPKPK19rocblas_complex_numIdEPKPS3_EvbiT0_T1_lllT2_llli.uses_vcc, 1
	.set _ZL18rocblas_her_kernelILi1024EPKdPKPK19rocblas_complex_numIdEPKPS3_EvbiT0_T1_lllT2_llli.uses_flat_scratch, 0
	.set _ZL18rocblas_her_kernelILi1024EPKdPKPK19rocblas_complex_numIdEPKPS3_EvbiT0_T1_lllT2_llli.has_dyn_sized_stack, 0
	.set _ZL18rocblas_her_kernelILi1024EPKdPKPK19rocblas_complex_numIdEPKPS3_EvbiT0_T1_lllT2_llli.has_recursion, 0
	.set _ZL18rocblas_her_kernelILi1024EPKdPKPK19rocblas_complex_numIdEPKPS3_EvbiT0_T1_lllT2_llli.has_indirect_call, 0
	.section	.AMDGPU.csdata,"",@progbits
; Kernel info:
; codeLenInByte = 964
; TotalNumSgprs: 31
; NumVgprs: 29
; ScratchSize: 0
; MemoryBound: 0
; FloatMode: 240
; IeeeMode: 1
; LDSByteSize: 0 bytes/workgroup (compile time only)
; SGPRBlocks: 3
; VGPRBlocks: 7
; NumSGPRsForWavesPerEU: 31
; NumVGPRsForWavesPerEU: 29
; Occupancy: 8
; WaveLimiterHint : 1
; COMPUTE_PGM_RSRC2:SCRATCH_EN: 0
; COMPUTE_PGM_RSRC2:USER_SGPR: 6
; COMPUTE_PGM_RSRC2:TRAP_HANDLER: 0
; COMPUTE_PGM_RSRC2:TGID_X_EN: 1
; COMPUTE_PGM_RSRC2:TGID_Y_EN: 0
; COMPUTE_PGM_RSRC2:TGID_Z_EN: 1
; COMPUTE_PGM_RSRC2:TIDIG_COMP_CNT: 0
	.section	.text._ZL18rocblas_her_kernelILi1024EdPKPK19rocblas_complex_numIdEPKPS1_EvbiT0_T1_lllT2_llli,"axG",@progbits,_ZL18rocblas_her_kernelILi1024EdPKPK19rocblas_complex_numIdEPKPS1_EvbiT0_T1_lllT2_llli,comdat
	.globl	_ZL18rocblas_her_kernelILi1024EdPKPK19rocblas_complex_numIdEPKPS1_EvbiT0_T1_lllT2_llli ; -- Begin function _ZL18rocblas_her_kernelILi1024EdPKPK19rocblas_complex_numIdEPKPS1_EvbiT0_T1_lllT2_llli
	.p2align	8
	.type	_ZL18rocblas_her_kernelILi1024EdPKPK19rocblas_complex_numIdEPKPS1_EvbiT0_T1_lllT2_llli,@function
_ZL18rocblas_her_kernelILi1024EdPKPK19rocblas_complex_numIdEPKPS1_EvbiT0_T1_lllT2_llli: ; @_ZL18rocblas_her_kernelILi1024EdPKPK19rocblas_complex_numIdEPKPS1_EvbiT0_T1_lllT2_llli
; %bb.0:
	s_load_dwordx8 s[8:15], s[4:5], 0x8
	s_waitcnt lgkmcnt(0)
	v_cmp_eq_f64_e64 s[0:1], s[8:9], 0
	s_and_b64 vcc, exec, s[0:1]
	s_cbranch_vccnz .LBB7_15
; %bb.1:
	s_load_dwordx2 s[16:17], s[4:5], 0x0
	s_load_dwordx4 s[0:3], s[4:5], 0x30
	s_load_dwordx2 s[20:21], s[4:5], 0x40
	s_mov_b32 s18, s7
	s_mov_b32 s19, 0
	s_lshl_b64 s[4:5], s[18:19], 3
	s_waitcnt lgkmcnt(0)
	s_and_b32 s16, s16, 1
	s_add_u32 s0, s0, s4
	s_addc_u32 s1, s1, s5
	s_load_dwordx2 s[18:19], s[0:1], 0x0
	s_lshl_b64 s[20:21], s[20:21], 4
	s_mul_hi_u32 s22, s14, s6
	s_mul_i32 s3, s3, s6
	v_cmp_gt_i32_e32 vcc, s17, v0
	s_waitcnt lgkmcnt(0)
	s_add_u32 s23, s18, s20
	s_addc_u32 s24, s19, s21
	s_add_u32 s0, s10, s4
	s_addc_u32 s1, s11, s5
	s_load_dwordx2 s[0:1], s[0:1], 0x0
	s_lshl_b64 s[4:5], s[12:13], 4
	s_mul_hi_u32 s11, s2, s6
	s_mul_i32 s10, s2, s6
	v_cndmask_b32_e32 v9, 0, v0, vcc
	s_waitcnt lgkmcnt(0)
	s_add_u32 s12, s0, s4
	s_addc_u32 s13, s1, s5
	s_ashr_i32 s7, s6, 31
	s_mul_i32 s2, s2, s7
	s_mul_i32 s25, s14, s7
	s_add_i32 s2, s11, s2
	s_add_i32 s11, s2, s3
	;; [unrolled: 1-line block ×3, first 2 shown]
	s_mul_i32 s3, s15, s6
	s_add_i32 s3, s2, s3
	s_mul_i32 s2, s14, s6
	s_lshl_b64 s[10:11], s[10:11], 4
	s_lshl_b64 s[2:3], s[2:3], 4
	s_add_u32 s2, s12, s2
	s_addc_u32 s3, s13, s3
	v_mov_b32_e32 v1, s2
	v_mov_b32_e32 v2, s3
	flat_load_dwordx4 v[1:4], v[1:2]
	v_lshlrev_b32_e32 v11, 4, v9
	v_mov_b32_e32 v9, s24
	v_add_co_u32_e32 v10, vcc, s23, v11
	v_addc_co_u32_e32 v12, vcc, 0, v9, vcc
	v_mov_b32_e32 v13, s11
	v_add_co_u32_e32 v9, vcc, s10, v10
	s_cmp_eq_u32 s16, 0
	v_addc_co_u32_e32 v10, vcc, v12, v13, vcc
	s_mov_b64 s[2:3], -1
	s_waitcnt vmcnt(0) lgkmcnt(0)
	v_mul_f64 v[5:6], v[3:4], 0
	v_mul_f64 v[7:8], s[8:9], v[3:4]
	v_fma_f64 v[5:6], s[8:9], v[1:2], v[5:6]
	v_fma_f64 v[7:8], v[1:2], 0, -v[7:8]
	s_cbranch_scc0 .LBB7_8
; %bb.2:
	v_cmp_eq_u32_e32 vcc, 0, v0
	s_and_saveexec_b64 s[2:3], vcc
	s_cbranch_execz .LBB7_4
; %bb.3:
	s_lshl_b64 s[8:9], s[6:7], 4
	v_mov_b32_e32 v12, s9
	v_add_co_u32_e32 v16, vcc, s8, v9
	v_addc_co_u32_e32 v17, vcc, v10, v12, vcc
	flat_load_dwordx2 v[12:13], v[16:17]
	v_mul_f64 v[14:15], v[3:4], v[7:8]
	v_fma_f64 v[14:15], v[1:2], v[5:6], -v[14:15]
	s_waitcnt vmcnt(0) lgkmcnt(0)
	v_add_f64 v[12:13], v[14:15], v[12:13]
	v_mov_b32_e32 v14, 0
	v_mov_b32_e32 v15, v14
	flat_store_dwordx4 v[16:17], v[12:15]
.LBB7_4:
	s_or_b64 exec, exec, s[2:3]
	s_add_i32 s8, s6, 1
	v_add_u32_e32 v13, s8, v0
	v_cmp_gt_i32_e32 vcc, s17, v13
	s_and_saveexec_b64 s[2:3], vcc
	s_cbranch_execz .LBB7_7
; %bb.5:
	s_add_u32 s7, s10, s20
	s_addc_u32 s10, s11, s21
	s_ashr_i32 s9, s8, 31
	s_lshl_b64 s[8:9], s[8:9], 4
	s_add_u32 s7, s7, s8
	s_addc_u32 s8, s10, s9
	s_add_u32 s7, s18, s7
	s_addc_u32 s8, s19, s8
	v_mov_b32_e32 v12, s8
	v_add_co_u32_e32 v11, vcc, s7, v11
	v_addc_co_u32_e32 v12, vcc, 0, v12, vcc
	s_mov_b64 s[8:9], 0
	v_mov_b32_e32 v14, s13
.LBB7_6:                                ; =>This Inner Loop Header: Depth=1
	v_ashrrev_i32_e32 v17, 31, v13
	v_mul_lo_u32 v18, s15, v13
	v_mad_u64_u32 v[15:16], s[10:11], s14, v13, 0
	v_mul_lo_u32 v17, s14, v17
	v_add_u32_e32 v13, 0x400, v13
	v_add3_u32 v16, v16, v17, v18
	v_lshlrev_b64 v[15:16], 4, v[15:16]
	v_add_co_u32_e32 v23, vcc, s12, v15
	v_addc_co_u32_e32 v24, vcc, v14, v16, vcc
	flat_load_dwordx4 v[15:18], v[23:24]
	flat_load_dwordx4 v[19:22], v[11:12]
	v_cmp_le_i32_e32 vcc, s17, v13
	s_or_b64 s[8:9], vcc, s[8:9]
	s_waitcnt vmcnt(0) lgkmcnt(0)
	v_mul_f64 v[23:24], v[7:8], v[17:18]
	v_mul_f64 v[17:18], v[5:6], v[17:18]
	v_fma_f64 v[23:24], v[5:6], v[15:16], -v[23:24]
	v_fma_f64 v[17:18], v[7:8], v[15:16], v[17:18]
	v_add_f64 v[15:16], v[19:20], v[23:24]
	v_add_f64 v[17:18], v[17:18], v[21:22]
	flat_store_dwordx4 v[11:12], v[15:18]
	v_add_co_u32_e32 v11, vcc, 0x4000, v11
	v_addc_co_u32_e32 v12, vcc, 0, v12, vcc
	s_andn2_b64 exec, exec, s[8:9]
	s_cbranch_execnz .LBB7_6
.LBB7_7:
	s_or_b64 exec, exec, s[2:3]
	s_mov_b64 s[2:3], 0
.LBB7_8:
	s_and_b64 vcc, exec, s[2:3]
	s_cbranch_vccz .LBB7_15
; %bb.9:
	v_mov_b32_e32 v15, 0
	v_cmp_gt_i32_e32 vcc, s6, v0
	v_mov_b32_e32 v16, 0
	v_mov_b32_e32 v17, v0
	s_and_saveexec_b64 s[2:3], vcc
	s_cbranch_execz .LBB7_13
; %bb.10:
	v_mad_u64_u32 v[11:12], s[8:9], s14, v0, 0
	s_add_u32 s0, s0, s4
	s_addc_u32 s1, s1, s5
	v_mad_u64_u32 v[12:13], s[8:9], s15, v0, v[12:13]
	v_mov_b32_e32 v13, s1
	s_mov_b32 s7, 0
	v_lshlrev_b64 v[11:12], 4, v[11:12]
	s_mov_b64 s[4:5], 0
	v_add_co_u32_e32 v11, vcc, s0, v11
	v_addc_co_u32_e32 v12, vcc, v13, v12, vcc
	s_lshl_b64 s[0:1], s[14:15], 14
	v_mov_b32_e32 v14, v10
	v_mov_b32_e32 v16, s1
	;; [unrolled: 1-line block ×3, first 2 shown]
.LBB7_11:                               ; =>This Inner Loop Header: Depth=1
	flat_load_dwordx4 v[17:20], v[11:12]
	flat_load_dwordx4 v[21:24], v[13:14]
	s_addk_i32 s7, 0x400
	v_add_co_u32_e32 v11, vcc, s0, v11
	v_addc_co_u32_e32 v12, vcc, v12, v16, vcc
	v_mov_b32_e32 v15, s7
	s_waitcnt vmcnt(0) lgkmcnt(0)
	v_mul_f64 v[25:26], v[7:8], v[19:20]
	v_mul_f64 v[19:20], v[5:6], v[19:20]
	v_fma_f64 v[25:26], v[5:6], v[17:18], -v[25:26]
	v_fma_f64 v[27:28], v[7:8], v[17:18], v[19:20]
	v_add_u32_e32 v17, s7, v0
	v_cmp_le_i32_e32 vcc, s6, v17
	s_or_b64 s[4:5], vcc, s[4:5]
	v_add_f64 v[18:19], v[21:22], v[25:26]
	v_add_f64 v[20:21], v[27:28], v[23:24]
	flat_store_dwordx4 v[13:14], v[18:21]
	v_add_co_u32_e32 v13, vcc, 0x4000, v13
	v_addc_co_u32_e32 v14, vcc, 0, v14, vcc
	s_andn2_b64 exec, exec, s[4:5]
	s_cbranch_execnz .LBB7_11
; %bb.12:
	s_or_b64 exec, exec, s[4:5]
	v_mov_b32_e32 v16, 0
.LBB7_13:
	s_or_b64 exec, exec, s[2:3]
	v_cmp_eq_u32_e32 vcc, s6, v17
	s_and_saveexec_b64 s[0:1], vcc
	s_cbranch_execz .LBB7_15
; %bb.14:
	v_lshlrev_b64 v[11:12], 4, v[15:16]
	v_mul_f64 v[3:4], v[3:4], v[7:8]
	v_add_co_u32_e32 v9, vcc, v9, v11
	v_addc_co_u32_e32 v10, vcc, v10, v12, vcc
	flat_load_dwordx2 v[11:12], v[9:10]
	v_fma_f64 v[0:1], v[1:2], v[5:6], -v[3:4]
	v_mov_b32_e32 v2, 0
	v_mov_b32_e32 v3, v2
	s_waitcnt vmcnt(0) lgkmcnt(0)
	v_add_f64 v[0:1], v[0:1], v[11:12]
	flat_store_dwordx4 v[9:10], v[0:3]
.LBB7_15:
	s_endpgm
	.section	.rodata,"a",@progbits
	.p2align	6, 0x0
	.amdhsa_kernel _ZL18rocblas_her_kernelILi1024EdPKPK19rocblas_complex_numIdEPKPS1_EvbiT0_T1_lllT2_llli
		.amdhsa_group_segment_fixed_size 0
		.amdhsa_private_segment_fixed_size 0
		.amdhsa_kernarg_size 84
		.amdhsa_user_sgpr_count 6
		.amdhsa_user_sgpr_private_segment_buffer 1
		.amdhsa_user_sgpr_dispatch_ptr 0
		.amdhsa_user_sgpr_queue_ptr 0
		.amdhsa_user_sgpr_kernarg_segment_ptr 1
		.amdhsa_user_sgpr_dispatch_id 0
		.amdhsa_user_sgpr_flat_scratch_init 0
		.amdhsa_user_sgpr_private_segment_size 0
		.amdhsa_uses_dynamic_stack 0
		.amdhsa_system_sgpr_private_segment_wavefront_offset 0
		.amdhsa_system_sgpr_workgroup_id_x 1
		.amdhsa_system_sgpr_workgroup_id_y 0
		.amdhsa_system_sgpr_workgroup_id_z 1
		.amdhsa_system_sgpr_workgroup_info 0
		.amdhsa_system_vgpr_workitem_id 0
		.amdhsa_next_free_vgpr 29
		.amdhsa_next_free_sgpr 26
		.amdhsa_reserve_vcc 1
		.amdhsa_reserve_flat_scratch 0
		.amdhsa_float_round_mode_32 0
		.amdhsa_float_round_mode_16_64 0
		.amdhsa_float_denorm_mode_32 3
		.amdhsa_float_denorm_mode_16_64 3
		.amdhsa_dx10_clamp 1
		.amdhsa_ieee_mode 1
		.amdhsa_fp16_overflow 0
		.amdhsa_exception_fp_ieee_invalid_op 0
		.amdhsa_exception_fp_denorm_src 0
		.amdhsa_exception_fp_ieee_div_zero 0
		.amdhsa_exception_fp_ieee_overflow 0
		.amdhsa_exception_fp_ieee_underflow 0
		.amdhsa_exception_fp_ieee_inexact 0
		.amdhsa_exception_int_div_zero 0
	.end_amdhsa_kernel
	.section	.text._ZL18rocblas_her_kernelILi1024EdPKPK19rocblas_complex_numIdEPKPS1_EvbiT0_T1_lllT2_llli,"axG",@progbits,_ZL18rocblas_her_kernelILi1024EdPKPK19rocblas_complex_numIdEPKPS1_EvbiT0_T1_lllT2_llli,comdat
.Lfunc_end7:
	.size	_ZL18rocblas_her_kernelILi1024EdPKPK19rocblas_complex_numIdEPKPS1_EvbiT0_T1_lllT2_llli, .Lfunc_end7-_ZL18rocblas_her_kernelILi1024EdPKPK19rocblas_complex_numIdEPKPS1_EvbiT0_T1_lllT2_llli
                                        ; -- End function
	.set _ZL18rocblas_her_kernelILi1024EdPKPK19rocblas_complex_numIdEPKPS1_EvbiT0_T1_lllT2_llli.num_vgpr, 29
	.set _ZL18rocblas_her_kernelILi1024EdPKPK19rocblas_complex_numIdEPKPS1_EvbiT0_T1_lllT2_llli.num_agpr, 0
	.set _ZL18rocblas_her_kernelILi1024EdPKPK19rocblas_complex_numIdEPKPS1_EvbiT0_T1_lllT2_llli.numbered_sgpr, 26
	.set _ZL18rocblas_her_kernelILi1024EdPKPK19rocblas_complex_numIdEPKPS1_EvbiT0_T1_lllT2_llli.num_named_barrier, 0
	.set _ZL18rocblas_her_kernelILi1024EdPKPK19rocblas_complex_numIdEPKPS1_EvbiT0_T1_lllT2_llli.private_seg_size, 0
	.set _ZL18rocblas_her_kernelILi1024EdPKPK19rocblas_complex_numIdEPKPS1_EvbiT0_T1_lllT2_llli.uses_vcc, 1
	.set _ZL18rocblas_her_kernelILi1024EdPKPK19rocblas_complex_numIdEPKPS1_EvbiT0_T1_lllT2_llli.uses_flat_scratch, 0
	.set _ZL18rocblas_her_kernelILi1024EdPKPK19rocblas_complex_numIdEPKPS1_EvbiT0_T1_lllT2_llli.has_dyn_sized_stack, 0
	.set _ZL18rocblas_her_kernelILi1024EdPKPK19rocblas_complex_numIdEPKPS1_EvbiT0_T1_lllT2_llli.has_recursion, 0
	.set _ZL18rocblas_her_kernelILi1024EdPKPK19rocblas_complex_numIdEPKPS1_EvbiT0_T1_lllT2_llli.has_indirect_call, 0
	.section	.AMDGPU.csdata,"",@progbits
; Kernel info:
; codeLenInByte = 952
; TotalNumSgprs: 30
; NumVgprs: 29
; ScratchSize: 0
; MemoryBound: 0
; FloatMode: 240
; IeeeMode: 1
; LDSByteSize: 0 bytes/workgroup (compile time only)
; SGPRBlocks: 3
; VGPRBlocks: 7
; NumSGPRsForWavesPerEU: 30
; NumVGPRsForWavesPerEU: 29
; Occupancy: 8
; WaveLimiterHint : 1
; COMPUTE_PGM_RSRC2:SCRATCH_EN: 0
; COMPUTE_PGM_RSRC2:USER_SGPR: 6
; COMPUTE_PGM_RSRC2:TRAP_HANDLER: 0
; COMPUTE_PGM_RSRC2:TGID_X_EN: 1
; COMPUTE_PGM_RSRC2:TGID_Y_EN: 0
; COMPUTE_PGM_RSRC2:TGID_Z_EN: 1
; COMPUTE_PGM_RSRC2:TIDIG_COMP_CNT: 0
	.section	.AMDGPU.gpr_maximums,"",@progbits
	.set amdgpu.max_num_vgpr, 0
	.set amdgpu.max_num_agpr, 0
	.set amdgpu.max_num_sgpr, 0
	.section	.AMDGPU.csdata,"",@progbits
	.type	__hip_cuid_2e35ea71d3ccc749,@object ; @__hip_cuid_2e35ea71d3ccc749
	.section	.bss,"aw",@nobits
	.globl	__hip_cuid_2e35ea71d3ccc749
__hip_cuid_2e35ea71d3ccc749:
	.byte	0                               ; 0x0
	.size	__hip_cuid_2e35ea71d3ccc749, 1

	.ident	"AMD clang version 22.0.0git (https://github.com/RadeonOpenCompute/llvm-project roc-7.2.4 26084 f58b06dce1f9c15707c5f808fd002e18c2accf7e)"
	.section	".note.GNU-stack","",@progbits
	.addrsig
	.addrsig_sym __hip_cuid_2e35ea71d3ccc749
	.amdgpu_metadata
---
amdhsa.kernels:
  - .args:
      - .offset:         0
        .size:           1
        .value_kind:     by_value
      - .offset:         4
        .size:           4
        .value_kind:     by_value
      - .address_space:  global
        .offset:         8
        .size:           8
        .value_kind:     global_buffer
      - .address_space:  global
        .offset:         16
        .size:           8
        .value_kind:     global_buffer
      - .offset:         24
        .size:           8
        .value_kind:     by_value
      - .offset:         32
        .size:           8
        .value_kind:     by_value
      - .offset:         40
        .size:           8
        .value_kind:     by_value
      - .address_space:  global
        .offset:         48
        .size:           8
        .value_kind:     global_buffer
      - .offset:         56
        .size:           8
        .value_kind:     by_value
      - .offset:         64
        .size:           8
        .value_kind:     by_value
      - .offset:         72
        .size:           8
        .value_kind:     by_value
      - .offset:         80
        .size:           4
        .value_kind:     by_value
    .group_segment_fixed_size: 0
    .kernarg_segment_align: 8
    .kernarg_segment_size: 84
    .language:       OpenCL C
    .language_version:
      - 2
      - 0
    .max_flat_workgroup_size: 1024
    .name:           _ZL18rocblas_her_kernelILi1024EPKfPK19rocblas_complex_numIfEPS3_EvbiT0_T1_lllT2_llli
    .private_segment_fixed_size: 0
    .sgpr_count:     33
    .sgpr_spill_count: 0
    .symbol:         _ZL18rocblas_her_kernelILi1024EPKfPK19rocblas_complex_numIfEPS3_EvbiT0_T1_lllT2_llli.kd
    .uniform_work_group_size: 1
    .uses_dynamic_stack: false
    .vgpr_count:     17
    .vgpr_spill_count: 0
    .wavefront_size: 64
  - .args:
      - .offset:         0
        .size:           1
        .value_kind:     by_value
      - .offset:         4
        .size:           4
        .value_kind:     by_value
      - .offset:         8
        .size:           4
        .value_kind:     by_value
      - .address_space:  global
        .offset:         16
        .size:           8
        .value_kind:     global_buffer
      - .offset:         24
        .size:           8
        .value_kind:     by_value
      - .offset:         32
        .size:           8
        .value_kind:     by_value
      - .offset:         40
        .size:           8
        .value_kind:     by_value
      - .address_space:  global
        .offset:         48
        .size:           8
        .value_kind:     global_buffer
      - .offset:         56
        .size:           8
        .value_kind:     by_value
      - .offset:         64
        .size:           8
        .value_kind:     by_value
      - .offset:         72
        .size:           8
        .value_kind:     by_value
      - .offset:         80
        .size:           4
        .value_kind:     by_value
    .group_segment_fixed_size: 0
    .kernarg_segment_align: 8
    .kernarg_segment_size: 84
    .language:       OpenCL C
    .language_version:
      - 2
      - 0
    .max_flat_workgroup_size: 1024
    .name:           _ZL18rocblas_her_kernelILi1024EfPK19rocblas_complex_numIfEPS1_EvbiT0_T1_lllT2_llli
    .private_segment_fixed_size: 0
    .sgpr_count:     33
    .sgpr_spill_count: 0
    .symbol:         _ZL18rocblas_her_kernelILi1024EfPK19rocblas_complex_numIfEPS1_EvbiT0_T1_lllT2_llli.kd
    .uniform_work_group_size: 1
    .uses_dynamic_stack: false
    .vgpr_count:     17
    .vgpr_spill_count: 0
    .wavefront_size: 64
  - .args:
      - .offset:         0
        .size:           1
        .value_kind:     by_value
      - .offset:         4
        .size:           4
        .value_kind:     by_value
      - .address_space:  global
        .offset:         8
        .size:           8
        .value_kind:     global_buffer
      - .address_space:  global
        .offset:         16
        .size:           8
        .value_kind:     global_buffer
      - .offset:         24
        .size:           8
        .value_kind:     by_value
      - .offset:         32
        .size:           8
        .value_kind:     by_value
      - .offset:         40
        .size:           8
        .value_kind:     by_value
      - .address_space:  global
        .offset:         48
        .size:           8
        .value_kind:     global_buffer
      - .offset:         56
        .size:           8
        .value_kind:     by_value
      - .offset:         64
        .size:           8
        .value_kind:     by_value
      - .offset:         72
        .size:           8
        .value_kind:     by_value
      - .offset:         80
        .size:           4
        .value_kind:     by_value
    .group_segment_fixed_size: 0
    .kernarg_segment_align: 8
    .kernarg_segment_size: 84
    .language:       OpenCL C
    .language_version:
      - 2
      - 0
    .max_flat_workgroup_size: 1024
    .name:           _ZL18rocblas_her_kernelILi1024EPKdPK19rocblas_complex_numIdEPS3_EvbiT0_T1_lllT2_llli
    .private_segment_fixed_size: 0
    .sgpr_count:     36
    .sgpr_spill_count: 0
    .symbol:         _ZL18rocblas_her_kernelILi1024EPKdPK19rocblas_complex_numIdEPS3_EvbiT0_T1_lllT2_llli.kd
    .uniform_work_group_size: 1
    .uses_dynamic_stack: false
    .vgpr_count:     23
    .vgpr_spill_count: 0
    .wavefront_size: 64
  - .args:
      - .offset:         0
        .size:           1
        .value_kind:     by_value
      - .offset:         4
        .size:           4
        .value_kind:     by_value
      - .offset:         8
        .size:           8
        .value_kind:     by_value
      - .address_space:  global
        .offset:         16
        .size:           8
        .value_kind:     global_buffer
      - .offset:         24
        .size:           8
        .value_kind:     by_value
      - .offset:         32
        .size:           8
        .value_kind:     by_value
      - .offset:         40
        .size:           8
        .value_kind:     by_value
      - .address_space:  global
        .offset:         48
        .size:           8
        .value_kind:     global_buffer
      - .offset:         56
        .size:           8
        .value_kind:     by_value
      - .offset:         64
        .size:           8
        .value_kind:     by_value
      - .offset:         72
        .size:           8
        .value_kind:     by_value
      - .offset:         80
        .size:           4
        .value_kind:     by_value
    .group_segment_fixed_size: 0
    .kernarg_segment_align: 8
    .kernarg_segment_size: 84
    .language:       OpenCL C
    .language_version:
      - 2
      - 0
    .max_flat_workgroup_size: 1024
    .name:           _ZL18rocblas_her_kernelILi1024EdPK19rocblas_complex_numIdEPS1_EvbiT0_T1_lllT2_llli
    .private_segment_fixed_size: 0
    .sgpr_count:     36
    .sgpr_spill_count: 0
    .symbol:         _ZL18rocblas_her_kernelILi1024EdPK19rocblas_complex_numIdEPS1_EvbiT0_T1_lllT2_llli.kd
    .uniform_work_group_size: 1
    .uses_dynamic_stack: false
    .vgpr_count:     23
    .vgpr_spill_count: 0
    .wavefront_size: 64
  - .args:
      - .offset:         0
        .size:           1
        .value_kind:     by_value
      - .offset:         4
        .size:           4
        .value_kind:     by_value
      - .address_space:  global
        .offset:         8
        .size:           8
        .value_kind:     global_buffer
      - .address_space:  global
        .offset:         16
        .size:           8
        .value_kind:     global_buffer
      - .offset:         24
        .size:           8
        .value_kind:     by_value
      - .offset:         32
        .size:           8
        .value_kind:     by_value
      - .offset:         40
        .size:           8
        .value_kind:     by_value
      - .address_space:  global
        .offset:         48
        .size:           8
        .value_kind:     global_buffer
      - .offset:         56
        .size:           8
        .value_kind:     by_value
      - .offset:         64
        .size:           8
        .value_kind:     by_value
      - .offset:         72
        .size:           8
        .value_kind:     by_value
      - .offset:         80
        .size:           4
        .value_kind:     by_value
    .group_segment_fixed_size: 0
    .kernarg_segment_align: 8
    .kernarg_segment_size: 84
    .language:       OpenCL C
    .language_version:
      - 2
      - 0
    .max_flat_workgroup_size: 1024
    .name:           _ZL18rocblas_her_kernelILi1024EPKfPKPK19rocblas_complex_numIfEPKPS3_EvbiT0_T1_lllT2_llli
    .private_segment_fixed_size: 0
    .sgpr_count:     30
    .sgpr_spill_count: 0
    .symbol:         _ZL18rocblas_her_kernelILi1024EPKfPKPK19rocblas_complex_numIfEPKPS3_EvbiT0_T1_lllT2_llli.kd
    .uniform_work_group_size: 1
    .uses_dynamic_stack: false
    .vgpr_count:     17
    .vgpr_spill_count: 0
    .wavefront_size: 64
  - .args:
      - .offset:         0
        .size:           1
        .value_kind:     by_value
      - .offset:         4
        .size:           4
        .value_kind:     by_value
      - .offset:         8
        .size:           4
        .value_kind:     by_value
      - .address_space:  global
        .offset:         16
        .size:           8
        .value_kind:     global_buffer
      - .offset:         24
        .size:           8
        .value_kind:     by_value
      - .offset:         32
        .size:           8
        .value_kind:     by_value
      - .offset:         40
        .size:           8
        .value_kind:     by_value
      - .address_space:  global
        .offset:         48
        .size:           8
        .value_kind:     global_buffer
      - .offset:         56
        .size:           8
        .value_kind:     by_value
      - .offset:         64
        .size:           8
        .value_kind:     by_value
      - .offset:         72
        .size:           8
        .value_kind:     by_value
      - .offset:         80
        .size:           4
        .value_kind:     by_value
    .group_segment_fixed_size: 0
    .kernarg_segment_align: 8
    .kernarg_segment_size: 84
    .language:       OpenCL C
    .language_version:
      - 2
      - 0
    .max_flat_workgroup_size: 1024
    .name:           _ZL18rocblas_her_kernelILi1024EfPKPK19rocblas_complex_numIfEPKPS1_EvbiT0_T1_lllT2_llli
    .private_segment_fixed_size: 0
    .sgpr_count:     30
    .sgpr_spill_count: 0
    .symbol:         _ZL18rocblas_her_kernelILi1024EfPKPK19rocblas_complex_numIfEPKPS1_EvbiT0_T1_lllT2_llli.kd
    .uniform_work_group_size: 1
    .uses_dynamic_stack: false
    .vgpr_count:     17
    .vgpr_spill_count: 0
    .wavefront_size: 64
  - .args:
      - .offset:         0
        .size:           1
        .value_kind:     by_value
      - .offset:         4
        .size:           4
        .value_kind:     by_value
      - .address_space:  global
        .offset:         8
        .size:           8
        .value_kind:     global_buffer
      - .address_space:  global
        .offset:         16
        .size:           8
        .value_kind:     global_buffer
      - .offset:         24
        .size:           8
        .value_kind:     by_value
      - .offset:         32
        .size:           8
        .value_kind:     by_value
      - .offset:         40
        .size:           8
        .value_kind:     by_value
      - .address_space:  global
        .offset:         48
        .size:           8
        .value_kind:     global_buffer
      - .offset:         56
        .size:           8
        .value_kind:     by_value
      - .offset:         64
        .size:           8
        .value_kind:     by_value
      - .offset:         72
        .size:           8
        .value_kind:     by_value
      - .offset:         80
        .size:           4
        .value_kind:     by_value
    .group_segment_fixed_size: 0
    .kernarg_segment_align: 8
    .kernarg_segment_size: 84
    .language:       OpenCL C
    .language_version:
      - 2
      - 0
    .max_flat_workgroup_size: 1024
    .name:           _ZL18rocblas_her_kernelILi1024EPKdPKPK19rocblas_complex_numIdEPKPS3_EvbiT0_T1_lllT2_llli
    .private_segment_fixed_size: 0
    .sgpr_count:     31
    .sgpr_spill_count: 0
    .symbol:         _ZL18rocblas_her_kernelILi1024EPKdPKPK19rocblas_complex_numIdEPKPS3_EvbiT0_T1_lllT2_llli.kd
    .uniform_work_group_size: 1
    .uses_dynamic_stack: false
    .vgpr_count:     29
    .vgpr_spill_count: 0
    .wavefront_size: 64
  - .args:
      - .offset:         0
        .size:           1
        .value_kind:     by_value
      - .offset:         4
        .size:           4
        .value_kind:     by_value
      - .offset:         8
        .size:           8
        .value_kind:     by_value
      - .address_space:  global
        .offset:         16
        .size:           8
        .value_kind:     global_buffer
      - .offset:         24
        .size:           8
        .value_kind:     by_value
      - .offset:         32
        .size:           8
        .value_kind:     by_value
      - .offset:         40
        .size:           8
        .value_kind:     by_value
      - .address_space:  global
        .offset:         48
        .size:           8
        .value_kind:     global_buffer
      - .offset:         56
        .size:           8
        .value_kind:     by_value
      - .offset:         64
        .size:           8
        .value_kind:     by_value
      - .offset:         72
        .size:           8
        .value_kind:     by_value
      - .offset:         80
        .size:           4
        .value_kind:     by_value
    .group_segment_fixed_size: 0
    .kernarg_segment_align: 8
    .kernarg_segment_size: 84
    .language:       OpenCL C
    .language_version:
      - 2
      - 0
    .max_flat_workgroup_size: 1024
    .name:           _ZL18rocblas_her_kernelILi1024EdPKPK19rocblas_complex_numIdEPKPS1_EvbiT0_T1_lllT2_llli
    .private_segment_fixed_size: 0
    .sgpr_count:     30
    .sgpr_spill_count: 0
    .symbol:         _ZL18rocblas_her_kernelILi1024EdPKPK19rocblas_complex_numIdEPKPS1_EvbiT0_T1_lllT2_llli.kd
    .uniform_work_group_size: 1
    .uses_dynamic_stack: false
    .vgpr_count:     29
    .vgpr_spill_count: 0
    .wavefront_size: 64
amdhsa.target:   amdgcn-amd-amdhsa--gfx906
amdhsa.version:
  - 1
  - 2
...

	.end_amdgpu_metadata
